;; amdgpu-corpus repo=ROCm/rocFFT kind=compiled arch=gfx950 opt=O3
	.text
	.amdgcn_target "amdgcn-amd-amdhsa--gfx950"
	.amdhsa_code_object_version 6
	.protected	bluestein_single_fwd_len260_dim1_dp_op_CI_CI ; -- Begin function bluestein_single_fwd_len260_dim1_dp_op_CI_CI
	.globl	bluestein_single_fwd_len260_dim1_dp_op_CI_CI
	.p2align	8
	.type	bluestein_single_fwd_len260_dim1_dp_op_CI_CI,@function
bluestein_single_fwd_len260_dim1_dp_op_CI_CI: ; @bluestein_single_fwd_len260_dim1_dp_op_CI_CI
; %bb.0:
	s_load_dwordx4 s[8:11], s[0:1], 0x28
	v_mul_u32_u24_e32 v1, 0x9d9, v0
	v_lshrrev_b32_e32 v1, 16, v1
	v_lshl_add_u32 v138, s2, 1, v1
	v_mov_b32_e32 v139, 0
	s_waitcnt lgkmcnt(0)
	v_cmp_gt_u64_e32 vcc, s[8:9], v[138:139]
	s_and_saveexec_b64 s[2:3], vcc
	s_cbranch_execz .LBB0_15
; %bb.1:
	s_load_dwordx2 s[8:9], s[0:1], 0x0
	s_load_dwordx2 s[12:13], s[0:1], 0x38
	v_mul_lo_u16_e32 v2, 26, v1
	v_sub_u16_e32 v139, v0, v2
	v_and_b32_e32 v0, 1, v1
	v_mov_b32_e32 v1, 0x104
	v_cmp_eq_u32_e32 vcc, 1, v0
	v_cmp_gt_u16_e64 s[2:3], 20, v139
	v_lshlrev_b32_e32 v136, 4, v139
	v_cndmask_b32_e32 v222, 0, v1, vcc
	v_lshlrev_b32_e32 v223, 4, v222
	s_and_saveexec_b64 s[14:15], s[2:3]
	s_cbranch_execz .LBB0_3
; %bb.2:
	s_load_dwordx2 s[4:5], s[0:1], 0x18
	v_mov_b32_e32 v0, s10
	v_mov_b32_e32 v1, s11
	v_mov_b32_e32 v98, 0x140
	v_or_b32_e32 v77, 0xa0, v139
	s_waitcnt lgkmcnt(0)
	s_load_dwordx4 s[4:7], s[4:5], 0x0
	v_mov_b32_e32 v80, 0x280
	v_lshl_add_u32 v110, v139, 4, v223
	v_add_u32_e32 v111, v223, v136
	s_waitcnt lgkmcnt(0)
	v_mad_u64_u32 v[2:3], s[10:11], s6, v138, 0
	v_mad_u64_u32 v[4:5], s[10:11], s4, v139, 0
	v_mov_b32_e32 v6, v3
	v_mov_b32_e32 v8, v5
	v_mad_u64_u32 v[6:7], s[6:7], s7, v138, v[6:7]
	v_mov_b32_e32 v3, v6
	v_mad_u64_u32 v[6:7], s[6:7], s5, v139, v[8:9]
	v_mov_b32_e32 v5, v6
	v_lshl_add_u64 v[44:45], v[2:3], 4, v[0:1]
	v_lshl_add_u64 v[4:5], v[4:5], 4, v[44:45]
	v_mad_u64_u32 v[46:47], s[6:7], s4, v98, v[4:5]
	s_mul_i32 s6, s5, 0x140
	s_nop 0
	v_add_u32_e32 v47, s6, v47
	global_load_dwordx4 v[0:3], v[4:5], off
	v_mad_u64_u32 v[48:49], s[10:11], s4, v98, v[46:47]
	global_load_dwordx4 v[4:7], v136, s[8:9]
	global_load_dwordx4 v[8:11], v136, s[8:9] offset:320
	v_add_u32_e32 v49, s6, v49
	v_mad_u64_u32 v[58:59], s[10:11], s4, v98, v[48:49]
	v_add_u32_e32 v59, s6, v59
	v_mad_u64_u32 v[74:75], s[10:11], s4, v77, 0
	v_mad_u64_u32 v[62:63], s[10:11], s4, v98, v[58:59]
	v_mov_b32_e32 v76, v75
	global_load_dwordx4 v[16:19], v[46:47], off
	global_load_dwordx4 v[12:15], v[48:49], off
	global_load_dwordx4 v[20:23], v136, s[8:9] offset:640
	global_load_dwordx4 v[24:27], v136, s[8:9] offset:960
	;; [unrolled: 1-line block ×6, first 2 shown]
	global_load_dwordx4 v[46:49], v[58:59], off
	global_load_dwordx4 v[50:53], v136, s[8:9] offset:2560
	global_load_dwordx4 v[54:57], v136, s[8:9] offset:2880
	v_add_u32_e32 v63, s6, v63
	v_mad_u64_u32 v[76:77], s[10:11], s5, v77, v[76:77]
	global_load_dwordx4 v[58:61], v[62:63], off
	v_mad_u64_u32 v[66:67], s[10:11], s4, v98, v[62:63]
	v_mov_b32_e32 v75, v76
	v_add_u32_e32 v67, s6, v67
	v_lshl_add_u64 v[44:45], v[74:75], 4, v[44:45]
	global_load_dwordx4 v[74:77], v[44:45], off
	global_load_dwordx4 v[62:65], v[66:67], off
	v_mad_u64_u32 v[70:71], s[10:11], s4, v98, v[66:67]
	v_add_u32_e32 v71, s6, v71
	global_load_dwordx4 v[66:69], v[70:71], off
	v_mad_u64_u32 v[78:79], s[10:11], s4, v98, v[70:71]
	v_add_u32_e32 v79, s6, v79
	global_load_dwordx4 v[70:73], v[78:79], off
	s_mulk_i32 s5, 0x280
	v_mad_u64_u32 v[44:45], s[10:11], s4, v80, v[78:79]
	v_add_u32_e32 v45, s5, v45
	global_load_dwordx4 v[78:81], v[44:45], off
	v_mad_u64_u32 v[44:45], s[10:11], s4, v98, v[44:45]
	v_add_u32_e32 v45, s6, v45
	global_load_dwordx4 v[82:85], v[44:45], off
	global_load_dwordx4 v[86:89], v136, s[8:9] offset:3200
	global_load_dwordx4 v[90:93], v136, s[8:9] offset:3520
	v_mad_u64_u32 v[44:45], s[10:11], s4, v98, v[44:45]
	v_add_u32_e32 v45, s6, v45
	global_load_dwordx4 v[94:97], v[44:45], off
	v_mad_u64_u32 v[44:45], s[4:5], s4, v98, v[44:45]
	v_add_u32_e32 v45, s6, v45
	global_load_dwordx4 v[98:101], v136, s[8:9] offset:3840
	global_load_dwordx4 v[102:105], v[44:45], off
	s_waitcnt vmcnt(24)
	v_mul_f64 v[106:107], v[2:3], v[6:7]
	v_mul_f64 v[44:45], v[0:1], v[6:7]
	v_fmac_f64_e32 v[106:107], v[0:1], v[4:5]
	v_fma_f64 v[108:109], v[2:3], v[4:5], -v[44:45]
	s_waitcnt vmcnt(22)
	v_mul_f64 v[0:1], v[18:19], v[10:11]
	v_mul_f64 v[2:3], v[16:17], v[10:11]
	v_fmac_f64_e32 v[0:1], v[16:17], v[8:9]
	s_waitcnt vmcnt(20)
	v_mul_f64 v[6:7], v[12:13], v[22:23]
	v_mul_f64 v[4:5], v[14:15], v[22:23]
	v_fma_f64 v[2:3], v[18:19], v[8:9], -v[2:3]
	v_fma_f64 v[6:7], v[14:15], v[20:21], -v[6:7]
	v_fmac_f64_e32 v[4:5], v[12:13], v[20:21]
	ds_write_b128 v110, v[106:109]
	ds_write_b128 v111, v[0:3] offset:320
	ds_write_b128 v111, v[4:7] offset:640
	s_waitcnt vmcnt(14)
	v_mul_f64 v[0:1], v[46:47], v[26:27]
	v_fma_f64 v[2:3], v[48:49], v[24:25], -v[0:1]
	v_mul_f64 v[0:1], v[48:49], v[26:27]
	v_fmac_f64_e32 v[0:1], v[46:47], v[24:25]
	ds_write_b128 v111, v[0:3] offset:960
	s_waitcnt vmcnt(11)
	v_mul_f64 v[0:1], v[60:61], v[30:31]
	v_mul_f64 v[2:3], v[58:59], v[30:31]
	v_fmac_f64_e32 v[0:1], v[58:59], v[28:29]
	v_fma_f64 v[2:3], v[60:61], v[28:29], -v[2:3]
	ds_write_b128 v111, v[0:3] offset:1280
	s_waitcnt vmcnt(9)
	v_mul_f64 v[0:1], v[64:65], v[34:35]
	v_mul_f64 v[2:3], v[62:63], v[34:35]
	v_fmac_f64_e32 v[0:1], v[62:63], v[32:33]
	v_fma_f64 v[2:3], v[64:65], v[32:33], -v[2:3]
	;; [unrolled: 6-line block ×4, first 2 shown]
	ds_write_b128 v111, v[0:3] offset:2240
	v_mul_f64 v[0:1], v[76:77], v[52:53]
	v_mul_f64 v[2:3], v[74:75], v[52:53]
	v_fmac_f64_e32 v[0:1], v[74:75], v[50:51]
	v_fma_f64 v[2:3], v[76:77], v[50:51], -v[2:3]
	ds_write_b128 v111, v[0:3] offset:2560
	s_waitcnt vmcnt(6)
	v_mul_f64 v[0:1], v[80:81], v[56:57]
	v_mul_f64 v[2:3], v[78:79], v[56:57]
	v_fmac_f64_e32 v[0:1], v[78:79], v[54:55]
	v_fma_f64 v[2:3], v[80:81], v[54:55], -v[2:3]
	ds_write_b128 v111, v[0:3] offset:2880
	s_waitcnt vmcnt(4)
	;; [unrolled: 6-line block ×4, first 2 shown]
	v_mul_f64 v[0:1], v[104:105], v[100:101]
	v_mul_f64 v[2:3], v[102:103], v[100:101]
	v_fmac_f64_e32 v[0:1], v[102:103], v[98:99]
	v_fma_f64 v[2:3], v[104:105], v[98:99], -v[2:3]
	ds_write_b128 v111, v[0:3] offset:3840
.LBB0_3:
	s_or_b64 exec, exec, s[14:15]
	s_load_dwordx2 s[4:5], s[0:1], 0x20
	s_load_dwordx2 s[10:11], s[0:1], 0x8
	s_waitcnt lgkmcnt(0)
	; wave barrier
	s_waitcnt lgkmcnt(0)
                                        ; implicit-def: $vgpr12_vgpr13
                                        ; implicit-def: $vgpr16_vgpr17
                                        ; implicit-def: $vgpr20_vgpr21
                                        ; implicit-def: $vgpr24_vgpr25
                                        ; implicit-def: $vgpr28_vgpr29
                                        ; implicit-def: $vgpr32_vgpr33
                                        ; implicit-def: $vgpr36_vgpr37
                                        ; implicit-def: $vgpr40_vgpr41
                                        ; implicit-def: $vgpr44_vgpr45
                                        ; implicit-def: $vgpr48_vgpr49
                                        ; implicit-def: $vgpr52_vgpr53
                                        ; implicit-def: $vgpr56_vgpr57
                                        ; implicit-def: $vgpr60_vgpr61
	s_and_saveexec_b64 s[0:1], s[2:3]
	s_cbranch_execz .LBB0_5
; %bb.4:
	v_lshl_add_u32 v0, v222, 4, v136
	ds_read_b128 v[12:15], v0
	ds_read_b128 v[16:19], v0 offset:320
	ds_read_b128 v[20:23], v0 offset:640
	;; [unrolled: 1-line block ×12, first 2 shown]
.LBB0_5:
	s_or_b64 exec, exec, s[0:1]
	s_mov_b32 s20, 0x4267c47c
	s_waitcnt lgkmcnt(0)
	v_add_f64 v[80:81], v[18:19], -v[62:63]
	s_mov_b32 s0, 0xe00740e9
	s_mov_b32 s21, 0xbfddbe06
	s_mov_b32 s26, 0x42a4c3d2
	v_add_f64 v[92:93], v[16:17], v[60:61]
	v_add_f64 v[98:99], v[16:17], -v[60:61]
	s_mov_b32 s1, 0x3fec55a7
	v_mul_f64 v[84:85], v[80:81], s[20:21]
	s_mov_b32 s6, 0x1ea71119
	s_mov_b32 s27, 0xbfea55e2
	v_add_f64 v[118:119], v[22:23], -v[58:59]
	v_add_f64 v[82:83], v[18:19], v[62:63]
	v_mul_f64 v[86:87], v[98:99], s[20:21]
	v_fma_f64 v[0:1], s[0:1], v[92:93], v[84:85]
	s_mov_b32 s7, 0x3fe22d96
	s_mov_b32 s18, 0x66966769
	v_add_f64 v[102:103], v[20:21], v[56:57]
	v_add_f64 v[108:109], v[20:21], -v[56:57]
	v_mul_f64 v[88:89], v[118:119], s[26:27]
	v_add_f64 v[0:1], v[12:13], v[0:1]
	v_fma_f64 v[2:3], v[82:83], s[0:1], -v[86:87]
	s_mov_b32 s14, 0xebaa3ed8
	s_mov_b32 s19, 0xbfefc445
	v_add_f64 v[130:131], v[22:23], v[58:59]
	v_mul_f64 v[90:91], v[108:109], s[26:27]
	v_fma_f64 v[4:5], s[6:7], v[102:103], v[88:89]
	v_add_f64 v[152:153], v[26:27], -v[54:55]
	v_add_f64 v[2:3], v[14:15], v[2:3]
	s_mov_b32 s15, 0x3fbedb7d
	v_add_f64 v[0:1], v[4:5], v[0:1]
	v_fma_f64 v[4:5], v[130:131], s[6:7], -v[90:91]
	v_add_f64 v[110:111], v[24:25], v[52:53]
	v_mul_f64 v[94:95], v[152:153], s[18:19]
	v_add_f64 v[124:125], v[24:25], -v[52:53]
	s_mov_b32 s28, 0x2ef20147
	v_add_f64 v[2:3], v[4:5], v[2:3]
	v_add_f64 v[126:127], v[26:27], v[54:55]
	v_fma_f64 v[4:5], s[14:15], v[110:111], v[94:95]
	v_mul_f64 v[96:97], v[124:125], s[18:19]
	s_mov_b32 s22, 0xb2365da1
	s_mov_b32 s29, 0xbfedeba7
	v_add_f64 v[172:173], v[30:31], -v[50:51]
	v_add_f64 v[0:1], v[4:5], v[0:1]
	v_fma_f64 v[4:5], v[126:127], s[14:15], -v[96:97]
	s_mov_b32 s23, 0xbfd6b1d8
	v_add_f64 v[120:121], v[28:29], v[48:49]
	v_mul_f64 v[100:101], v[172:173], s[28:29]
	v_add_f64 v[154:155], v[28:29], -v[48:49]
	s_mov_b32 s30, 0x24c2f84
	v_add_f64 v[2:3], v[4:5], v[2:3]
	v_fma_f64 v[4:5], s[22:23], v[120:121], v[100:101]
	v_add_f64 v[134:135], v[30:31], v[50:51]
	v_mul_f64 v[104:105], v[154:155], s[28:29]
	s_mov_b32 s24, 0xd0032e0c
	s_mov_b32 s31, 0x3fe5384d
	;; [unrolled: 1-line block ×4, first 2 shown]
	v_add_f64 v[206:207], v[34:35], -v[46:47]
	v_add_f64 v[0:1], v[4:5], v[0:1]
	v_fma_f64 v[4:5], v[134:135], s[22:23], -v[104:105]
	s_mov_b32 s25, 0xbfe7f3cc
	v_add_f64 v[150:151], v[32:33], v[44:45]
	v_mul_f64 v[106:107], v[206:207], s[36:37]
	v_add_f64 v[184:185], v[32:33], -v[44:45]
	s_mov_b32 s40, 0x4bc48dbf
	v_add_f64 v[2:3], v[4:5], v[2:3]
	v_fma_f64 v[4:5], s[24:25], v[150:151], v[106:107]
	v_add_f64 v[156:157], v[34:35], v[46:47]
	v_mul_f64 v[112:113], v[184:185], s[36:37]
	s_mov_b32 s34, 0x93053d00
	s_mov_b32 s41, 0xbfcea1e5
	v_add_f64 v[220:221], v[38:39], -v[42:43]
	v_add_f64 v[0:1], v[4:5], v[0:1]
	v_fma_f64 v[4:5], v[156:157], s[24:25], -v[112:113]
	s_mov_b32 s35, 0xbfef11f4
	v_add_f64 v[162:163], v[36:37], v[40:41]
	v_mul_f64 v[114:115], v[220:221], s[40:41]
	v_add_f64 v[212:213], v[36:37], -v[40:41]
	v_add_f64 v[2:3], v[4:5], v[2:3]
	v_fma_f64 v[4:5], s[34:35], v[162:163], v[114:115]
	v_add_f64 v[166:167], v[38:39], v[42:43]
	v_mul_f64 v[116:117], v[212:213], s[40:41]
	v_add_f64 v[0:1], v[4:5], v[0:1]
	v_fma_f64 v[4:5], v[166:167], s[34:35], -v[116:117]
	v_mul_f64 v[122:123], v[80:81], s[26:27]
	v_add_f64 v[2:3], v[4:5], v[2:3]
	v_fma_f64 v[4:5], s[6:7], v[92:93], v[122:123]
	v_mul_f64 v[128:129], v[118:119], s[28:29]
	v_add_f64 v[4:5], v[12:13], v[4:5]
	v_fma_f64 v[6:7], s[22:23], v[102:103], v[128:129]
	v_mul_f64 v[140:141], v[98:99], s[26:27]
	v_add_f64 v[4:5], v[6:7], v[4:5]
	v_fma_f64 v[6:7], v[82:83], s[6:7], -v[140:141]
	v_mul_f64 v[144:145], v[108:109], s[28:29]
	v_add_f64 v[6:7], v[14:15], v[6:7]
	v_fma_f64 v[8:9], v[130:131], s[22:23], -v[144:145]
	v_mul_f64 v[132:133], v[152:153], s[40:41]
	v_add_f64 v[6:7], v[8:9], v[6:7]
	v_fma_f64 v[8:9], s[34:35], v[110:111], v[132:133]
	v_mul_f64 v[148:149], v[124:125], s[40:41]
	v_add_f64 v[4:5], v[8:9], v[4:5]
	v_fma_f64 v[8:9], v[126:127], s[34:35], -v[148:149]
	v_mul_f64 v[142:143], v[172:173], s[30:31]
	v_add_f64 v[6:7], v[8:9], v[6:7]
	v_fma_f64 v[8:9], s[24:25], v[120:121], v[142:143]
	v_mul_f64 v[158:159], v[154:155], s[30:31]
	s_mov_b32 s43, 0x3fefc445
	s_mov_b32 s42, s18
	v_add_f64 v[4:5], v[8:9], v[4:5]
	v_fma_f64 v[8:9], v[134:135], s[24:25], -v[158:159]
	v_mul_f64 v[146:147], v[206:207], s[42:43]
	v_add_f64 v[6:7], v[8:9], v[6:7]
	v_fma_f64 v[8:9], s[14:15], v[150:151], v[146:147]
	v_mul_f64 v[164:165], v[184:185], s[42:43]
	s_mov_b32 s39, 0x3fddbe06
	s_mov_b32 s38, s20
	v_add_f64 v[4:5], v[8:9], v[4:5]
	v_fma_f64 v[8:9], v[156:157], s[14:15], -v[164:165]
	v_mul_f64 v[160:161], v[220:221], s[38:39]
	v_add_f64 v[6:7], v[8:9], v[6:7]
	v_fma_f64 v[8:9], s[0:1], v[162:163], v[160:161]
	v_mul_f64 v[168:169], v[212:213], s[38:39]
	v_add_f64 v[4:5], v[8:9], v[4:5]
	v_fma_f64 v[8:9], v[166:167], s[0:1], -v[168:169]
	v_mul_f64 v[174:175], v[80:81], s[18:19]
	v_add_f64 v[6:7], v[8:9], v[6:7]
	v_fma_f64 v[8:9], s[14:15], v[92:93], v[174:175]
	v_mul_f64 v[178:179], v[118:119], s[40:41]
	v_add_f64 v[8:9], v[12:13], v[8:9]
	v_fma_f64 v[10:11], s[34:35], v[102:103], v[178:179]
	v_mul_f64 v[188:189], v[98:99], s[18:19]
	v_add_f64 v[8:9], v[10:11], v[8:9]
	v_fma_f64 v[10:11], v[82:83], s[14:15], -v[188:189]
	v_mul_f64 v[194:195], v[108:109], s[40:41]
	s_mov_b32 s45, 0x3fedeba7
	s_mov_b32 s44, s28
	v_add_f64 v[10:11], v[14:15], v[10:11]
	v_fma_f64 v[64:65], v[130:131], s[34:35], -v[194:195]
	v_mul_f64 v[186:187], v[152:153], s[44:45]
	v_add_f64 v[10:11], v[64:65], v[10:11]
	v_fma_f64 v[64:65], s[22:23], v[110:111], v[186:187]
	v_mul_f64 v[200:201], v[124:125], s[44:45]
	v_add_f64 v[8:9], v[64:65], v[8:9]
	v_fma_f64 v[64:65], v[126:127], s[22:23], -v[200:201]
	v_mul_f64 v[192:193], v[172:173], s[38:39]
	v_add_f64 v[10:11], v[64:65], v[10:11]
	v_fma_f64 v[64:65], s[0:1], v[120:121], v[192:193]
	v_mul_f64 v[208:209], v[154:155], s[38:39]
	;; [unrolled: 6-line block ×4, first 2 shown]
	v_add_f64 v[8:9], v[64:65], v[8:9]
	v_fma_f64 v[64:65], v[166:167], s[24:25], -v[216:217]
	v_add_f64 v[10:11], v[64:65], v[10:11]
	v_mul_lo_u16_e32 v224, 13, v139
	s_waitcnt lgkmcnt(0)
	; wave barrier
	s_and_saveexec_b64 s[16:17], s[2:3]
	s_cbranch_execz .LBB0_7
; %bb.6:
	v_mul_f64 v[230:231], v[82:83], s[34:35]
	s_mov_b32 s47, 0x3fcea1e5
	s_mov_b32 s46, s40
	v_mul_f64 v[226:227], v[130:131], s[0:1]
	v_fma_f64 v[232:233], s[46:47], v[98:99], v[230:231]
	v_mul_f64 v[244:245], v[80:81], s[40:41]
	v_mul_f64 v[76:77], v[126:127], s[24:25]
	v_fma_f64 v[228:229], s[20:21], v[108:109], v[226:227]
	v_add_f64 v[232:233], v[14:15], v[232:233]
	v_mul_f64 v[240:241], v[118:119], s[38:39]
	v_fma_f64 v[246:247], s[34:35], v[92:93], v[244:245]
	v_mul_f64 v[72:73], v[134:135], s[6:7]
	v_fma_f64 v[78:79], s[30:31], v[124:125], v[76:77]
	v_add_f64 v[228:229], v[228:229], v[232:233]
	s_mov_b32 s49, 0x3fea55e2
	s_mov_b32 s48, s26
	v_mul_f64 v[236:237], v[152:153], s[36:37]
	v_fma_f64 v[242:243], s[0:1], v[102:103], v[240:241]
	v_add_f64 v[246:247], v[12:13], v[246:247]
	v_mul_f64 v[70:71], v[156:157], s[22:23]
	v_fma_f64 v[74:75], s[26:27], v[154:155], v[72:73]
	v_add_f64 v[78:79], v[78:79], v[228:229]
	v_mul_f64 v[232:233], v[172:173], s[48:49]
	v_fma_f64 v[238:239], s[24:25], v[110:111], v[236:237]
	v_add_f64 v[242:243], v[242:243], v[246:247]
	v_mul_f64 v[68:69], v[166:167], s[14:15]
	v_fma_f64 v[66:67], s[44:45], v[184:185], v[70:71]
	v_add_f64 v[74:75], v[74:75], v[78:79]
	v_mul_f64 v[78:79], v[206:207], s[28:29]
	v_fma_f64 v[234:235], s[6:7], v[120:121], v[232:233]
	v_add_f64 v[238:239], v[238:239], v[242:243]
	v_fma_f64 v[64:65], s[18:19], v[212:213], v[68:69]
	v_add_f64 v[66:67], v[66:67], v[74:75]
	v_mul_f64 v[74:75], v[220:221], s[42:43]
	v_fma_f64 v[228:229], s[22:23], v[150:151], v[78:79]
	v_add_f64 v[234:235], v[234:235], v[238:239]
	v_add_f64 v[66:67], v[64:65], v[66:67]
	v_fma_f64 v[64:65], s[14:15], v[162:163], v[74:75]
	v_add_f64 v[228:229], v[228:229], v[234:235]
	v_fmac_f64_e32 v[230:231], s[40:41], v[98:99]
	v_add_f64 v[64:65], v[64:65], v[228:229]
	v_fmac_f64_e32 v[226:227], s[38:39], v[108:109]
	;; [unrolled: 2-line block ×5, first 2 shown]
	v_add_f64 v[72:73], v[72:73], v[76:77]
	v_fma_f64 v[226:227], v[92:93], s[34:35], -v[244:245]
	v_mul_f64 v[238:239], v[82:83], s[24:25]
	v_add_f64 v[70:71], v[70:71], v[72:73]
	v_fma_f64 v[72:73], v[150:151], s[22:23], -v[78:79]
	v_fma_f64 v[78:79], v[102:103], s[0:1], -v[240:241]
	v_add_f64 v[226:227], v[12:13], v[226:227]
	v_mul_f64 v[234:235], v[130:131], s[14:15]
	v_fma_f64 v[240:241], s[30:31], v[98:99], v[238:239]
	v_fmac_f64_e32 v[68:69], s[42:43], v[212:213]
	v_fma_f64 v[76:77], v[110:111], s[24:25], -v[236:237]
	v_add_f64 v[78:79], v[78:79], v[226:227]
	v_mul_f64 v[230:231], v[126:127], s[6:7]
	v_fma_f64 v[236:237], s[18:19], v[108:109], v[234:235]
	v_add_f64 v[240:241], v[14:15], v[240:241]
	v_add_f64 v[70:71], v[68:69], v[70:71]
	v_fma_f64 v[68:69], v[162:163], s[14:15], -v[74:75]
	v_fma_f64 v[74:75], v[120:121], s[6:7], -v[232:233]
	v_add_f64 v[76:77], v[76:77], v[78:79]
	v_mul_f64 v[226:227], v[134:135], s[34:35]
	v_fma_f64 v[232:233], s[48:49], v[124:125], v[230:231]
	v_add_f64 v[236:237], v[236:237], v[240:241]
	v_add_f64 v[74:75], v[74:75], v[76:77]
	v_mul_f64 v[78:79], v[156:157], s[0:1]
	v_fma_f64 v[228:229], s[40:41], v[154:155], v[226:227]
	v_add_f64 v[232:233], v[232:233], v[236:237]
	;; [unrolled: 4-line block ×3, first 2 shown]
	v_mul_f64 v[244:245], v[80:81], s[36:37]
	v_fmac_f64_e32 v[238:239], s[36:37], v[98:99]
	v_add_f64 v[68:69], v[68:69], v[72:73]
	v_fma_f64 v[72:73], s[44:45], v[212:213], v[76:77]
	v_add_f64 v[74:75], v[74:75], v[228:229]
	v_mul_f64 v[242:243], v[118:119], s[42:43]
	v_fma_f64 v[246:247], s[24:25], v[92:93], v[244:245]
	v_fmac_f64_e32 v[234:235], s[42:43], v[108:109]
	v_add_f64 v[238:239], v[14:15], v[238:239]
	v_add_f64 v[74:75], v[72:73], v[74:75]
	v_mul_f64 v[240:241], v[152:153], s[26:27]
	v_fma_f64 v[72:73], s[14:15], v[102:103], v[242:243]
	v_add_f64 v[246:247], v[12:13], v[246:247]
	v_add_f64 v[234:235], v[234:235], v[238:239]
	v_fmac_f64_e32 v[230:231], s[26:27], v[124:125]
	v_mul_f64 v[236:237], v[172:173], s[46:47]
	v_add_f64 v[72:73], v[72:73], v[246:247]
	v_fma_f64 v[246:247], s[6:7], v[110:111], v[240:241]
	v_add_f64 v[230:231], v[230:231], v[234:235]
	v_fmac_f64_e32 v[226:227], s[46:47], v[154:155]
	v_mul_f64 v[232:233], v[206:207], s[38:39]
	v_add_f64 v[72:73], v[246:247], v[72:73]
	v_fma_f64 v[246:247], s[34:35], v[120:121], v[236:237]
	;; [unrolled: 5-line block ×3, first 2 shown]
	v_fmac_f64_e32 v[76:77], s[28:29], v[212:213]
	v_add_f64 v[78:79], v[78:79], v[226:227]
	v_add_f64 v[72:73], v[246:247], v[72:73]
	v_fma_f64 v[246:247], s[22:23], v[162:163], v[228:229]
	v_add_f64 v[78:79], v[76:77], v[78:79]
	v_fma_f64 v[76:77], v[162:163], s[22:23], -v[228:229]
	v_fma_f64 v[228:229], v[120:121], s[34:35], -v[236:237]
	;; [unrolled: 1-line block ×3, first 2 shown]
	v_mul_f64 v[244:245], v[82:83], s[22:23]
	v_mul_f64 v[180:181], v[82:83], s[0:1]
	v_mul_f64 v[204:205], v[82:83], s[6:7]
	v_mul_f64 v[218:219], v[82:83], s[14:15]
	v_mul_f64 v[182:183], v[130:131], s[6:7]
	v_add_f64 v[72:73], v[246:247], v[72:73]
	v_mul_f64 v[246:247], v[130:131], s[22:23]
	v_mul_f64 v[238:239], v[130:131], s[34:35]
	v_fma_f64 v[226:227], v[150:151], s[0:1], -v[232:233]
	v_fma_f64 v[232:233], v[102:103], s[14:15], -v[242:243]
	v_add_f64 v[236:237], v[12:13], v[236:237]
	v_mul_f64 v[130:131], v[130:131], s[24:25]
	v_fma_f64 v[82:83], s[44:45], v[98:99], v[244:245]
	v_fma_f64 v[230:231], v[110:111], s[6:7], -v[240:241]
	v_add_f64 v[232:233], v[232:233], v[236:237]
	v_mul_f64 v[240:241], v[126:127], s[0:1]
	v_fma_f64 v[242:243], s[36:37], v[108:109], v[130:131]
	v_add_f64 v[82:83], v[14:15], v[82:83]
	v_add_f64 v[230:231], v[230:231], v[232:233]
	v_mul_f64 v[236:237], v[134:135], s[14:15]
	v_add_f64 v[82:83], v[242:243], v[82:83]
	v_fma_f64 v[242:243], s[20:21], v[124:125], v[240:241]
	v_add_f64 v[228:229], v[228:229], v[230:231]
	v_mul_f64 v[230:231], v[156:157], s[34:35]
	v_add_f64 v[82:83], v[242:243], v[82:83]
	v_fma_f64 v[242:243], s[42:43], v[154:155], v[236:237]
	v_add_f64 v[226:227], v[226:227], v[228:229]
	v_fma_f64 v[232:233], s[40:41], v[184:185], v[230:231]
	v_add_f64 v[82:83], v[242:243], v[82:83]
	v_add_f64 v[76:77], v[76:77], v[226:227]
	v_mul_f64 v[226:227], v[166:167], s[6:7]
	v_add_f64 v[82:83], v[232:233], v[82:83]
	v_mul_f64 v[232:233], v[80:81], s[28:29]
	v_fma_f64 v[228:229], s[26:27], v[212:213], v[226:227]
	v_mul_f64 v[118:119], v[118:119], s[30:31]
	v_fma_f64 v[80:81], s[22:23], v[92:93], v[232:233]
	v_add_f64 v[82:83], v[228:229], v[82:83]
	v_mul_f64 v[152:153], v[152:153], s[38:39]
	v_fma_f64 v[228:229], s[24:25], v[102:103], v[118:119]
	v_add_f64 v[80:81], v[12:13], v[80:81]
	v_mul_f64 v[170:171], v[92:93], s[0:1]
	v_mul_f64 v[190:191], v[92:93], s[6:7]
	;; [unrolled: 1-line block ×4, first 2 shown]
	v_add_f64 v[80:81], v[228:229], v[80:81]
	v_fma_f64 v[228:229], s[0:1], v[110:111], v[152:153]
	v_fma_f64 v[92:93], v[92:93], s[22:23], -v[232:233]
	v_mul_f64 v[176:177], v[102:103], s[6:7]
	v_mul_f64 v[196:197], v[102:103], s[22:23]
	;; [unrolled: 1-line block ×4, first 2 shown]
	v_add_f64 v[80:81], v[228:229], v[80:81]
	v_fma_f64 v[228:229], s[14:15], v[120:121], v[172:173]
	v_fmac_f64_e32 v[244:245], s[28:29], v[98:99]
	v_fma_f64 v[102:103], v[102:103], s[24:25], -v[118:119]
	v_add_f64 v[92:93], v[12:13], v[92:93]
	v_mul_f64 v[220:221], v[220:221], s[48:49]
	v_add_f64 v[80:81], v[228:229], v[80:81]
	v_fma_f64 v[228:229], s[34:35], v[150:151], v[206:207]
	v_fmac_f64_e32 v[130:131], s[30:31], v[108:109]
	v_add_f64 v[108:109], v[14:15], v[244:245]
	v_fma_f64 v[152:153], v[110:111], s[0:1], -v[152:153]
	v_add_f64 v[92:93], v[102:103], v[92:93]
	v_add_f64 v[80:81], v[228:229], v[80:81]
	v_fma_f64 v[228:229], s[6:7], v[162:163], v[220:221]
	v_fmac_f64_e32 v[236:237], s[18:19], v[154:155]
	v_mul_f64 v[154:155], v[120:121], s[22:23]
	v_fmac_f64_e32 v[240:241], s[38:39], v[124:125]
	v_mul_f64 v[252:253], v[120:121], s[24:25]
	v_add_f64 v[108:109], v[130:131], v[108:109]
	v_mul_f64 v[124:125], v[120:121], s[0:1]
	v_mul_f64 v[130:131], v[134:135], s[0:1]
	v_fma_f64 v[120:121], v[120:121], s[14:15], -v[172:173]
	v_add_f64 v[92:93], v[152:153], v[92:93]
	v_add_f64 v[152:153], v[188:189], v[218:219]
	;; [unrolled: 1-line block ×3, first 2 shown]
	v_mul_f64 v[228:229], v[126:127], s[14:15]
	v_fmac_f64_e32 v[226:227], s[48:49], v[212:213]
	v_mul_f64 v[212:213], v[126:127], s[34:35]
	v_mul_f64 v[126:127], v[126:127], s[22:23]
	v_add_f64 v[108:109], v[240:241], v[108:109]
	v_add_f64 v[92:93], v[120:121], v[92:93]
	;; [unrolled: 1-line block ×5, first 2 shown]
	v_fmac_f64_e32 v[230:231], s[46:47], v[184:185]
	v_add_f64 v[108:109], v[236:237], v[108:109]
	v_fma_f64 v[206:207], v[150:151], s[34:35], -v[206:207]
	v_add_f64 v[126:127], v[200:201], v[126:127]
	v_add_f64 v[130:131], v[130:131], v[152:153]
	v_mul_f64 v[236:237], v[156:157], s[24:25]
	v_add_f64 v[108:109], v[230:231], v[108:109]
	v_mul_f64 v[172:173], v[156:157], s[14:15]
	v_mul_f64 v[156:157], v[156:157], s[6:7]
	v_fma_f64 v[118:119], v[162:163], s[6:7], -v[220:221]
	v_add_f64 v[92:93], v[206:207], v[92:93]
	v_add_f64 v[126:127], v[126:127], v[130:131]
	v_mul_f64 v[234:235], v[110:111], s[14:15]
	v_mul_f64 v[242:243], v[110:111], s[34:35]
	;; [unrolled: 1-line block ×6, first 2 shown]
	v_add_f64 v[110:111], v[226:227], v[108:109]
	v_add_f64 v[108:109], v[118:119], v[92:93]
	;; [unrolled: 1-line block ×4, first 2 shown]
	v_mul_f64 v[250:251], v[134:135], s[22:23]
	v_mul_f64 v[98:99], v[134:135], s[24:25]
	;; [unrolled: 1-line block ×5, first 2 shown]
	v_add_f64 v[92:93], v[216:217], v[166:167]
	v_add_f64 v[118:119], v[118:119], v[120:121]
	;; [unrolled: 1-line block ×3, first 2 shown]
	v_add_f64 v[118:119], v[150:151], -v[198:199]
	v_add_f64 v[150:151], v[214:215], -v[174:175]
	;; [unrolled: 1-line block ×3, first 2 shown]
	v_add_f64 v[150:151], v[12:13], v[150:151]
	v_add_f64 v[126:127], v[184:185], -v[186:187]
	v_add_f64 v[130:131], v[130:131], v[150:151]
	v_add_f64 v[126:127], v[126:127], v[130:131]
	;; [unrolled: 1-line block ×3, first 2 shown]
	v_add_f64 v[122:123], v[190:191], -v[122:123]
	v_add_f64 v[86:87], v[86:87], v[180:181]
	v_add_f64 v[84:85], v[170:171], -v[84:85]
	v_add_f64 v[124:125], v[124:125], -v[192:193]
	v_add_f64 v[130:131], v[14:15], v[130:131]
	v_add_f64 v[122:123], v[12:13], v[122:123]
	v_add_f64 v[86:87], v[14:15], v[86:87]
	v_add_f64 v[84:85], v[12:13], v[84:85]
	v_add_f64 v[14:15], v[14:15], v[18:19]
	v_add_f64 v[12:13], v[12:13], v[16:17]
	v_add_f64 v[124:125], v[124:125], v[126:127]
	v_add_f64 v[126:127], v[144:145], v[246:247]
	v_add_f64 v[14:15], v[14:15], v[22:23]
	v_add_f64 v[12:13], v[12:13], v[20:21]
	v_mul_f64 v[240:241], v[162:163], s[34:35]
	v_mul_f64 v[232:233], v[162:163], s[0:1]
	;; [unrolled: 1-line block ×3, first 2 shown]
	v_add_f64 v[118:119], v[118:119], v[124:125]
	v_add_f64 v[124:125], v[148:149], v[212:213]
	;; [unrolled: 1-line block ×5, first 2 shown]
	v_add_f64 v[92:93], v[162:163], -v[202:203]
	v_add_f64 v[98:99], v[158:159], v[98:99]
	v_add_f64 v[124:125], v[124:125], v[126:127]
	v_add_f64 v[128:129], v[196:197], -v[128:129]
	v_add_f64 v[14:15], v[14:15], v[30:31]
	v_add_f64 v[12:13], v[12:13], v[28:29]
	;; [unrolled: 1-line block ×6, first 2 shown]
	v_add_f64 v[126:127], v[242:243], -v[132:133]
	v_add_f64 v[122:123], v[128:129], v[122:123]
	v_add_f64 v[14:15], v[14:15], v[34:35]
	v_add_f64 v[12:13], v[12:13], v[32:33]
	v_add_f64 v[98:99], v[102:103], v[98:99]
	v_add_f64 v[102:103], v[252:253], -v[142:143]
	v_add_f64 v[122:123], v[126:127], v[122:123]
	v_add_f64 v[90:91], v[90:91], v[182:183]
	v_add_f64 v[14:15], v[14:15], v[38:39]
	v_add_f64 v[12:13], v[12:13], v[36:37]
	v_add_f64 v[124:125], v[92:93], v[98:99]
	v_add_f64 v[98:99], v[230:231], -v[146:147]
	v_add_f64 v[102:103], v[102:103], v[122:123]
	;; [unrolled: 6-line block ×3, first 2 shown]
	v_add_f64 v[102:103], v[104:105], v[250:251]
	v_add_f64 v[86:87], v[96:97], v[86:87]
	v_add_f64 v[88:89], v[176:177], -v[88:89]
	v_add_f64 v[14:15], v[14:15], v[46:47]
	v_add_f64 v[12:13], v[12:13], v[44:45]
	v_add_f64 v[122:123], v[92:93], v[98:99]
	v_add_f64 v[98:99], v[112:113], v[236:237]
	v_add_f64 v[86:87], v[102:103], v[86:87]
	v_add_f64 v[94:95], v[234:235], -v[94:95]
	v_add_f64 v[84:85], v[88:89], v[84:85]
	v_add_f64 v[14:15], v[14:15], v[50:51]
	v_add_f64 v[12:13], v[12:13], v[48:49]
	;; [unrolled: 6-line block ×3, first 2 shown]
	v_add_f64 v[86:87], v[92:93], v[86:87]
	v_add_f64 v[92:93], v[134:135], -v[106:107]
	v_add_f64 v[84:85], v[96:97], v[84:85]
	v_add_f64 v[14:15], v[14:15], v[58:59]
	;; [unrolled: 1-line block ×3, first 2 shown]
	v_add_f64 v[90:91], v[240:241], -v[114:115]
	v_add_f64 v[84:85], v[92:93], v[84:85]
	v_add_f64 v[14:15], v[14:15], v[62:63]
	v_add_f64 v[12:13], v[12:13], v[60:61]
	v_add_lshl_u32 v16, v222, v224, 4
	v_add_f64 v[84:85], v[90:91], v[84:85]
	ds_write_b128 v16, v[12:15]
	ds_write_b128 v16, v[84:87] offset:16
	ds_write_b128 v16, v[122:125] offset:32
	;; [unrolled: 1-line block ×12, first 2 shown]
.LBB0_7:
	s_or_b64 exec, exec, s[16:17]
	v_add_u32_e32 v12, -13, v139
	v_cmp_gt_u16_e32 vcc, 13, v139
	s_load_dwordx4 s[4:7], s[4:5], 0x0
	s_waitcnt lgkmcnt(0)
	v_cndmask_b32_e32 v124, v12, v139, vcc
	v_mul_hi_i32_i24_e32 v13, 0x90, v124
	v_mul_i32_i24_e32 v12, 0x90, v124
	v_lshl_add_u64 v[48:49], s[10:11], 0, v[12:13]
	; wave barrier
	global_load_dwordx4 v[24:27], v[48:49], off
	global_load_dwordx4 v[20:23], v[48:49], off offset:16
	global_load_dwordx4 v[16:19], v[48:49], off offset:32
	;; [unrolled: 1-line block ×8, first 2 shown]
	v_add_lshl_u32 v188, v222, v139, 4
	ds_read_b128 v[48:51], v188
	ds_read_b128 v[52:55], v188 offset:416
	ds_read_b128 v[56:59], v188 offset:832
	;; [unrolled: 1-line block ×9, first 2 shown]
	s_mov_b32 s18, 0x134454ff
	s_mov_b32 s19, 0x3fee6f0e
	;; [unrolled: 1-line block ×12, first 2 shown]
	v_cmp_lt_u16_e32 vcc, 12, v139
	s_waitcnt lgkmcnt(0)
	; wave barrier
	s_waitcnt lgkmcnt(0)
	v_lshl_add_u32 v189, v139, 4, v223
	v_add_u32_e32 v132, v136, v223
	s_waitcnt vmcnt(8)
	v_mul_f64 v[88:89], v[54:55], v[26:27]
	s_waitcnt vmcnt(7)
	v_mul_f64 v[92:93], v[58:59], v[22:23]
	v_mul_f64 v[90:91], v[52:53], v[26:27]
	;; [unrolled: 1-line block ×3, first 2 shown]
	s_waitcnt vmcnt(6)
	v_mul_f64 v[96:97], v[62:63], v[18:19]
	s_waitcnt vmcnt(5)
	v_mul_f64 v[100:101], v[66:67], v[14:15]
	;; [unrolled: 2-line block ×4, first 2 shown]
	v_fma_f64 v[88:89], v[52:53], v[24:25], -v[88:89]
	v_fma_f64 v[52:53], v[56:57], v[20:21], -v[92:93]
	v_mul_f64 v[98:99], v[60:61], v[18:19]
	v_mul_f64 v[106:107], v[68:69], v[42:43]
	s_waitcnt vmcnt(1)
	v_mul_f64 v[116:117], v[82:83], v[30:31]
	v_mul_f64 v[118:119], v[80:81], v[30:31]
	v_fmac_f64_e32 v[90:91], v[54:55], v[24:25]
	v_fmac_f64_e32 v[94:95], v[58:59], v[20:21]
	v_fma_f64 v[54:55], v[60:61], v[16:17], -v[96:97]
	v_fma_f64 v[56:57], v[64:65], v[12:13], -v[100:101]
	;; [unrolled: 1-line block ×4, first 2 shown]
	v_add_f64 v[68:69], v[48:49], v[52:53]
	v_mul_f64 v[102:103], v[64:65], v[14:15]
	v_mul_f64 v[110:111], v[72:73], v[38:39]
	;; [unrolled: 1-line block ×4, first 2 shown]
	v_fmac_f64_e32 v[106:107], v[70:71], v[40:41]
	v_fma_f64 v[64:65], v[80:81], v[28:29], -v[116:117]
	v_fmac_f64_e32 v[118:119], v[82:83], v[28:29]
	v_add_f64 v[70:71], v[56:57], v[60:61]
	v_add_f64 v[68:69], v[68:69], v[56:57]
	v_fmac_f64_e32 v[98:99], v[62:63], v[16:17]
	v_fmac_f64_e32 v[102:103], v[66:67], v[12:13]
	;; [unrolled: 1-line block ×3, first 2 shown]
	v_fma_f64 v[62:63], v[76:77], v[32:33], -v[112:113]
	v_fmac_f64_e32 v[114:115], v[78:79], v[32:33]
	v_add_f64 v[72:73], v[94:95], -v[118:119]
	v_add_f64 v[76:77], v[52:53], -v[56:57]
	;; [unrolled: 1-line block ×3, first 2 shown]
	v_fma_f64 v[82:83], -0.5, v[70:71], v[48:49]
	v_add_f64 v[68:69], v[68:69], v[60:61]
	v_add_f64 v[74:75], v[102:103], -v[110:111]
	v_add_f64 v[70:71], v[76:77], v[78:79]
	v_fma_f64 v[76:77], s[18:19], v[72:73], v[82:83]
	v_fmac_f64_e32 v[82:83], s[14:15], v[72:73]
	v_add_f64 v[78:79], v[68:69], v[64:65]
	v_add_f64 v[68:69], v[52:53], v[64:65]
	v_fmac_f64_e32 v[76:77], s[20:21], v[74:75]
	v_fmac_f64_e32 v[82:83], s[16:17], v[74:75]
	v_fmac_f64_e32 v[48:49], -0.5, v[68:69]
	v_fmac_f64_e32 v[76:77], s[0:1], v[70:71]
	v_fmac_f64_e32 v[82:83], s[0:1], v[70:71]
	v_fma_f64 v[80:81], s[14:15], v[74:75], v[48:49]
	v_add_f64 v[68:69], v[56:57], -v[52:53]
	v_add_f64 v[70:71], v[60:61], -v[64:65]
	v_fmac_f64_e32 v[48:49], s[18:19], v[74:75]
	v_fmac_f64_e32 v[80:81], s[20:21], v[72:73]
	v_add_f64 v[68:69], v[68:69], v[70:71]
	v_fmac_f64_e32 v[48:49], s[16:17], v[72:73]
	v_fmac_f64_e32 v[80:81], s[0:1], v[68:69]
	;; [unrolled: 1-line block ×3, first 2 shown]
	v_add_f64 v[68:69], v[50:51], v[94:95]
	v_add_f64 v[68:69], v[68:69], v[102:103]
	;; [unrolled: 1-line block ×3, first 2 shown]
	s_waitcnt vmcnt(0)
	v_mul_f64 v[122:123], v[84:85], v[46:47]
	v_add_f64 v[74:75], v[68:69], v[118:119]
	v_add_f64 v[68:69], v[102:103], v[110:111]
	v_mul_f64 v[120:121], v[86:87], v[46:47]
	v_fmac_f64_e32 v[122:123], v[86:87], v[44:45]
	v_fma_f64 v[86:87], -0.5, v[68:69], v[50:51]
	v_add_f64 v[52:53], v[52:53], -v[64:65]
	v_fma_f64 v[92:93], s[14:15], v[52:53], v[86:87]
	v_add_f64 v[56:57], v[56:57], -v[60:61]
	v_add_f64 v[60:61], v[94:95], -v[102:103]
	;; [unrolled: 1-line block ×3, first 2 shown]
	v_fmac_f64_e32 v[86:87], s[18:19], v[52:53]
	v_fmac_f64_e32 v[92:93], s[16:17], v[56:57]
	v_add_f64 v[60:61], v[60:61], v[64:65]
	v_fmac_f64_e32 v[86:87], s[20:21], v[56:57]
	v_fmac_f64_e32 v[92:93], s[0:1], v[60:61]
	v_fmac_f64_e32 v[86:87], s[0:1], v[60:61]
	v_add_f64 v[60:61], v[94:95], v[118:119]
	v_fmac_f64_e32 v[50:51], -0.5, v[60:61]
	v_fma_f64 v[96:97], s[18:19], v[56:57], v[50:51]
	v_fmac_f64_e32 v[50:51], s[14:15], v[56:57]
	v_fmac_f64_e32 v[96:97], s[16:17], v[52:53]
	v_fmac_f64_e32 v[50:51], s[20:21], v[52:53]
	v_add_f64 v[52:53], v[88:89], v[54:55]
	v_add_f64 v[52:53], v[52:53], v[58:59]
	v_fma_f64 v[66:67], v[84:85], v[44:45], -v[120:121]
	v_add_f64 v[52:53], v[52:53], v[62:63]
	v_add_f64 v[60:61], v[102:103], -v[94:95]
	v_add_f64 v[64:65], v[110:111], -v[118:119]
	v_add_f64 v[72:73], v[52:53], v[66:67]
	v_add_f64 v[52:53], v[58:59], v[62:63]
	;; [unrolled: 1-line block ×3, first 2 shown]
	v_fma_f64 v[70:71], -0.5, v[52:53], v[88:89]
	v_add_f64 v[52:53], v[98:99], -v[122:123]
	v_fmac_f64_e32 v[96:97], s[0:1], v[60:61]
	v_fmac_f64_e32 v[50:51], s[0:1], v[60:61]
	v_fma_f64 v[84:85], s[18:19], v[52:53], v[70:71]
	v_add_f64 v[56:57], v[106:107], -v[114:115]
	v_add_f64 v[60:61], v[54:55], -v[58:59]
	;; [unrolled: 1-line block ×3, first 2 shown]
	v_fmac_f64_e32 v[70:71], s[14:15], v[52:53]
	v_fmac_f64_e32 v[84:85], s[20:21], v[56:57]
	v_add_f64 v[60:61], v[60:61], v[64:65]
	v_fmac_f64_e32 v[70:71], s[16:17], v[56:57]
	v_fmac_f64_e32 v[84:85], s[0:1], v[60:61]
	;; [unrolled: 1-line block ×3, first 2 shown]
	v_add_f64 v[60:61], v[54:55], v[66:67]
	v_fmac_f64_e32 v[88:89], -0.5, v[60:61]
	v_fma_f64 v[94:95], s[14:15], v[56:57], v[88:89]
	v_fmac_f64_e32 v[88:89], s[18:19], v[56:57]
	v_fmac_f64_e32 v[94:95], s[20:21], v[52:53]
	;; [unrolled: 1-line block ×3, first 2 shown]
	v_add_f64 v[52:53], v[90:91], v[98:99]
	v_add_f64 v[52:53], v[52:53], v[106:107]
	;; [unrolled: 1-line block ×5, first 2 shown]
	v_fma_f64 v[102:103], -0.5, v[52:53], v[90:91]
	v_add_f64 v[52:53], v[54:55], -v[66:67]
	v_add_f64 v[60:61], v[58:59], -v[54:55]
	;; [unrolled: 1-line block ×3, first 2 shown]
	v_fma_f64 v[66:67], s[14:15], v[52:53], v[102:103]
	v_add_f64 v[54:55], v[58:59], -v[62:63]
	v_add_f64 v[56:57], v[98:99], -v[106:107]
	;; [unrolled: 1-line block ×3, first 2 shown]
	v_fmac_f64_e32 v[102:103], s[18:19], v[52:53]
	v_fmac_f64_e32 v[66:67], s[16:17], v[54:55]
	v_add_f64 v[56:57], v[56:57], v[58:59]
	v_fmac_f64_e32 v[102:103], s[20:21], v[54:55]
	v_fmac_f64_e32 v[66:67], s[0:1], v[56:57]
	v_fmac_f64_e32 v[102:103], s[0:1], v[56:57]
	v_add_f64 v[56:57], v[98:99], v[122:123]
	v_fmac_f64_e32 v[90:91], -0.5, v[56:57]
	v_fma_f64 v[62:63], s[18:19], v[54:55], v[90:91]
	v_add_f64 v[56:57], v[106:107], -v[98:99]
	v_add_f64 v[58:59], v[114:115], -v[122:123]
	v_fmac_f64_e32 v[90:91], s[14:15], v[54:55]
	v_add_f64 v[56:57], v[56:57], v[58:59]
	v_fmac_f64_e32 v[90:91], s[20:21], v[52:53]
	v_add_f64 v[60:61], v[60:61], v[64:65]
	v_fmac_f64_e32 v[90:91], s[0:1], v[56:57]
	v_mul_f64 v[110:111], v[84:85], s[16:17]
	v_fmac_f64_e32 v[88:89], s[0:1], v[60:61]
	v_fmac_f64_e32 v[62:63], s[16:17], v[52:53]
	v_mul_f64 v[98:99], v[66:67], s[20:21]
	v_fmac_f64_e32 v[110:111], s[22:23], v[66:67]
	v_mul_f64 v[66:67], v[90:91], s[0:1]
	;; [unrolled: 2-line block ×3, first 2 shown]
	v_fma_f64 v[88:89], v[88:89], s[14:15], -v[66:67]
	v_fmac_f64_e32 v[94:95], s[0:1], v[60:61]
	v_mul_f64 v[104:105], v[62:63], s[18:19]
	v_add_f64 v[66:67], v[50:51], v[88:89]
	v_add_f64 v[50:51], v[50:51], -v[88:89]
	v_mov_b32_e32 v88, 0x82
	v_fmac_f64_e32 v[104:105], s[0:1], v[94:95]
	v_mul_f64 v[94:95], v[94:95], s[14:15]
	v_cndmask_b32_e32 v88, 0, v88, vcc
	v_fmac_f64_e32 v[98:99], s[22:23], v[84:85]
	v_fma_f64 v[106:107], v[90:91], s[18:19], -v[54:55]
	v_mul_f64 v[54:55], v[70:71], s[22:23]
	v_fmac_f64_e32 v[94:95], s[0:1], v[62:63]
	v_mul_f64 v[84:85], v[102:103], s[22:23]
	v_add_u32_e32 v88, v124, v88
	v_add_f64 v[52:53], v[78:79], v[72:73]
	v_add_f64 v[56:57], v[76:77], v[98:99]
	;; [unrolled: 1-line block ×4, first 2 shown]
	v_fma_f64 v[108:109], v[102:103], s[20:21], -v[54:55]
	v_add_f64 v[54:55], v[74:75], v[100:101]
	v_add_f64 v[58:59], v[92:93], v[110:111]
	;; [unrolled: 1-line block ×3, first 2 shown]
	v_fma_f64 v[90:91], v[70:71], s[16:17], -v[84:85]
	v_add_f64 v[48:49], v[48:49], -v[106:107]
	v_add_lshl_u32 v190, v222, v88, 4
	v_add_f64 v[68:69], v[82:83], v[108:109]
	v_add_f64 v[70:71], v[86:87], v[90:91]
	v_add_f64 v[72:73], v[78:79], -v[72:73]
	v_add_f64 v[76:77], v[76:77], -v[98:99]
	;; [unrolled: 1-line block ×8, first 2 shown]
	ds_write_b128 v190, v[52:55]
	ds_write_b128 v190, v[56:59] offset:208
	ds_write_b128 v190, v[60:63] offset:416
	;; [unrolled: 1-line block ×9, first 2 shown]
	s_waitcnt lgkmcnt(0)
	; wave barrier
	s_waitcnt lgkmcnt(0)
	global_load_dwordx4 v[48:51], v136, s[10:11] offset:1872
	global_load_dwordx4 v[52:55], v136, s[10:11] offset:2288
	;; [unrolled: 1-line block ×5, first 2 shown]
	ds_read_b128 v[68:71], v188 offset:2080
	ds_read_b128 v[76:79], v188
	ds_read_b128 v[84:87], v188 offset:416
	ds_read_b128 v[72:75], v188 offset:2496
	;; [unrolled: 1-line block ×8, first 2 shown]
	s_waitcnt vmcnt(4) lgkmcnt(9)
	v_mul_f64 v[104:105], v[70:71], v[50:51]
	v_fma_f64 v[104:105], v[68:69], v[48:49], -v[104:105]
	v_mul_f64 v[68:69], v[68:69], v[50:51]
	v_fmac_f64_e32 v[68:69], v[70:71], v[48:49]
	s_waitcnt vmcnt(3) lgkmcnt(6)
	v_mul_f64 v[70:71], v[74:75], v[54:55]
	v_fma_f64 v[106:107], v[72:73], v[52:53], -v[70:71]
	s_waitcnt vmcnt(2) lgkmcnt(5)
	v_mul_f64 v[70:71], v[82:83], v[58:59]
	v_fma_f64 v[114:115], v[80:81], v[56:57], -v[70:71]
	s_waitcnt vmcnt(1) lgkmcnt(1)
	v_mul_f64 v[70:71], v[90:91], v[62:63]
	v_mul_f64 v[112:113], v[72:73], v[54:55]
	;; [unrolled: 1-line block ×3, first 2 shown]
	v_fma_f64 v[118:119], v[88:89], v[60:61], -v[70:71]
	v_mul_f64 v[120:121], v[88:89], v[62:63]
	s_waitcnt vmcnt(0) lgkmcnt(0)
	v_mul_f64 v[70:71], v[98:99], v[66:67]
	v_mul_f64 v[124:125], v[96:97], v[66:67]
	v_fmac_f64_e32 v[112:113], v[74:75], v[52:53]
	v_fmac_f64_e32 v[116:117], v[82:83], v[56:57]
	;; [unrolled: 1-line block ×3, first 2 shown]
	v_fma_f64 v[122:123], v[96:97], v[64:65], -v[70:71]
	v_fmac_f64_e32 v[124:125], v[98:99], v[64:65]
	v_add_f64 v[72:73], v[76:77], -v[104:105]
	v_add_f64 v[74:75], v[78:79], -v[68:69]
	;; [unrolled: 1-line block ×10, first 2 shown]
	v_fma_f64 v[68:69], v[76:77], 2.0, -v[72:73]
	v_fma_f64 v[70:71], v[78:79], 2.0, -v[74:75]
	;; [unrolled: 1-line block ×10, first 2 shown]
	ds_write_b128 v189, v[68:71]
	ds_write_b128 v189, v[72:75] offset:2080
	ds_write_b128 v189, v[76:79] offset:416
	;; [unrolled: 1-line block ×9, first 2 shown]
	s_waitcnt lgkmcnt(0)
	; wave barrier
	s_waitcnt lgkmcnt(0)
	s_and_saveexec_b64 s[0:1], s[2:3]
	s_cbranch_execz .LBB0_9
; %bb.8:
	v_mov_b32_e32 v137, 0
	v_lshl_add_u64 v[130:131], s[8:9], 0, v[136:137]
	s_mov_b64 s[10:11], 0x1040
	v_lshl_add_u64 v[128:129], v[130:131], 0, s[10:11]
	global_load_dwordx4 v[108:111], v[128:129], off offset:320
	global_load_dwordx4 v[112:115], v[128:129], off offset:640
	;; [unrolled: 1-line block ×6, first 2 shown]
	v_add_co_u32_e32 v130, vcc, 0x1000, v130
	global_load_dwordx4 v[144:147], v[128:129], off offset:2240
	global_load_dwordx4 v[148:151], v[128:129], off offset:2560
	global_load_dwordx4 v[152:155], v[128:129], off offset:2880
	v_addc_co_u32_e32 v131, vcc, 0, v131, vcc
	global_load_dwordx4 v[156:159], v[128:129], off offset:3200
	global_load_dwordx4 v[160:163], v[130:131], off offset:64
	;; [unrolled: 1-line block ×3, first 2 shown]
	s_nop 0
	global_load_dwordx4 v[128:131], v[128:129], off offset:3840
	ds_read_b128 v[168:171], v189
	ds_read_b128 v[172:175], v189 offset:320
	ds_read_b128 v[176:179], v189 offset:640
	;; [unrolled: 1-line block ×11, first 2 shown]
	s_waitcnt vmcnt(12) lgkmcnt(10)
	v_mul_f64 v[134:135], v[174:175], v[110:111]
	v_mul_f64 v[228:229], v[172:173], v[110:111]
	s_waitcnt vmcnt(11) lgkmcnt(9)
	v_mul_f64 v[220:221], v[178:179], v[114:115]
	v_mul_f64 v[110:111], v[176:177], v[114:115]
	;; [unrolled: 3-line block ×9, first 2 shown]
	s_waitcnt vmcnt(2)
	v_mul_f64 v[246:247], v[170:171], v[162:163]
	v_mul_f64 v[154:155], v[168:169], v[162:163]
	v_fma_f64 v[226:227], v[172:173], v[108:109], -v[134:135]
	v_fmac_f64_e32 v[228:229], v[174:175], v[108:109]
	v_fma_f64 v[108:109], v[176:177], v[112:113], -v[220:221]
	v_fmac_f64_e32 v[110:111], v[178:179], v[112:113]
	;; [unrolled: 2-line block ×10, first 2 shown]
	ds_write_b128 v189, v[226:229] offset:320
	ds_write_b128 v189, v[108:111] offset:640
	;; [unrolled: 1-line block ×9, first 2 shown]
	ds_write_b128 v189, v[152:155]
	ds_read_b128 v[108:111], v189 offset:3840
	s_waitcnt vmcnt(1) lgkmcnt(11)
	v_mul_f64 v[112:113], v[218:219], v[166:167]
	v_mul_f64 v[114:115], v[216:217], v[166:167]
	v_fma_f64 v[112:113], v[216:217], v[164:165], -v[112:113]
	v_fmac_f64_e32 v[114:115], v[218:219], v[164:165]
	v_mul_f64 v[244:245], v[214:215], v[158:159]
	v_mul_f64 v[174:175], v[212:213], v[158:159]
	ds_write_b128 v189, v[112:115] offset:3520
	s_waitcnt vmcnt(0) lgkmcnt(1)
	v_mul_f64 v[112:113], v[110:111], v[130:131]
	v_mul_f64 v[114:115], v[108:109], v[130:131]
	v_fma_f64 v[172:173], v[212:213], v[156:157], -v[244:245]
	v_fmac_f64_e32 v[174:175], v[214:215], v[156:157]
	v_fma_f64 v[112:113], v[108:109], v[128:129], -v[112:113]
	v_fmac_f64_e32 v[114:115], v[110:111], v[128:129]
	ds_write_b128 v189, v[172:175] offset:3200
	ds_write_b128 v189, v[112:115] offset:3840
.LBB0_9:
	s_or_b64 exec, exec, s[0:1]
	s_waitcnt lgkmcnt(0)
	; wave barrier
	s_waitcnt lgkmcnt(0)
	s_and_saveexec_b64 s[0:1], s[2:3]
	s_cbranch_execz .LBB0_11
; %bb.10:
	ds_read_b128 v[68:71], v189
	ds_read_b128 v[72:75], v189 offset:320
	ds_read_b128 v[76:79], v189 offset:640
	;; [unrolled: 1-line block ×12, first 2 shown]
.LBB0_11:
	s_or_b64 exec, exec, s[0:1]
	v_add_u32_e32 v137, 0x680, v132
	s_waitcnt lgkmcnt(0)
	; wave barrier
	s_waitcnt lgkmcnt(0)
	s_and_saveexec_b64 s[0:1], s[2:3]
	s_cbranch_execz .LBB0_13
; %bb.12:
	s_mov_b32 s30, 0x4bc48dbf
	v_add_f64 v[174:175], v[72:73], -v[0:1]
	s_mov_b32 s31, 0xbfcea1e5
	s_mov_b32 s26, 0x93053d00
	;; [unrolled: 1-line block ×3, first 2 shown]
	v_add_f64 v[172:173], v[76:77], -v[4:5]
	s_mov_b32 s29, 0x3fddbe06
	s_mov_b32 s28, 0x4267c47c
	;; [unrolled: 1-line block ×3, first 2 shown]
	v_mul_f64 v[128:129], v[174:175], s[30:31]
	v_add_f64 v[156:157], v[74:75], v[2:3]
	s_mov_b32 s27, 0xbfef11f4
	v_add_f64 v[186:187], v[74:75], -v[2:3]
	s_mov_b32 s40, 0x42a4c3d2
	v_add_f64 v[162:163], v[80:81], -v[8:9]
	s_mov_b32 s25, 0xbfe5384d
	s_mov_b32 s20, 0xd0032e0c
	v_mul_f64 v[124:125], v[172:173], s[28:29]
	v_add_f64 v[152:153], v[78:79], v[6:7]
	s_mov_b32 s23, 0x3fec55a7
	v_fma_f64 v[130:131], s[26:27], v[156:157], v[128:129]
	v_add_f64 v[184:185], v[78:79], -v[6:7]
	v_add_f64 v[170:171], v[72:73], v[0:1]
	v_mul_f64 v[198:199], v[186:187], s[30:31]
	s_mov_b32 s18, 0x2ef20147
	v_add_f64 v[154:155], v[84:85], -v[104:105]
	s_mov_b32 s41, 0x3fea55e2
	s_mov_b32 s16, 0x1ea71119
	v_mul_f64 v[120:121], v[162:163], s[24:25]
	v_add_f64 v[148:149], v[82:83], v[10:11]
	s_mov_b32 s21, 0xbfe7f3cc
	v_fma_f64 v[126:127], s[22:23], v[152:153], v[124:125]
	v_add_f64 v[130:131], v[70:71], v[130:131]
	v_add_f64 v[182:183], v[82:83], -v[10:11]
	v_add_f64 v[168:169], v[76:77], v[4:5]
	v_mul_f64 v[194:195], v[184:185], s[28:29]
	v_fma_f64 v[200:201], v[170:171], s[26:27], -v[198:199]
	s_mov_b32 s34, 0x66966769
	v_add_f64 v[150:151], v[88:89], -v[100:101]
	s_mov_b32 s19, 0xbfedeba7
	s_mov_b32 s14, 0xb2365da1
	v_mul_f64 v[116:117], v[154:155], s[40:41]
	v_add_f64 v[144:145], v[86:87], v[106:107]
	s_mov_b32 s17, 0x3fe22d96
	v_fma_f64 v[122:123], s[20:21], v[148:149], v[120:121]
	v_add_f64 v[126:127], v[126:127], v[130:131]
	v_add_f64 v[180:181], v[86:87], -v[106:107]
	v_add_f64 v[166:167], v[80:81], v[8:9]
	v_mul_f64 v[134:135], v[182:183], s[24:25]
	v_fma_f64 v[196:197], v[168:169], s[22:23], -v[194:195]
	v_add_f64 v[200:201], v[68:69], v[200:201]
	v_add_f64 v[146:147], v[92:93], -v[96:97]
	s_mov_b32 s35, 0x3fefc445
	s_mov_b32 s10, 0xebaa3ed8
	v_mul_f64 v[114:115], v[150:151], s[18:19]
	v_add_f64 v[142:143], v[90:91], v[102:103]
	s_mov_b32 s15, 0xbfd6b1d8
	v_fma_f64 v[118:119], s[16:17], v[144:145], v[116:117]
	v_add_f64 v[122:123], v[122:123], v[126:127]
	v_add_f64 v[178:179], v[90:91], -v[102:103]
	v_add_f64 v[164:165], v[84:85], v[104:105]
	v_mul_f64 v[130:131], v[180:181], s[40:41]
	v_fma_f64 v[192:193], v[166:167], s[20:21], -v[134:135]
	v_add_f64 v[196:197], v[196:197], v[200:201]
	v_mul_f64 v[112:113], v[146:147], s[34:35]
	v_add_f64 v[140:141], v[94:95], v[98:99]
	s_mov_b32 s11, 0x3fbedb7d
	v_fma_f64 v[110:111], s[14:15], v[142:143], v[114:115]
	v_add_f64 v[118:119], v[118:119], v[122:123]
	v_add_f64 v[176:177], v[94:95], -v[98:99]
	v_add_f64 v[160:161], v[88:89], v[100:101]
	v_mul_f64 v[122:123], v[178:179], s[18:19]
	v_fma_f64 v[132:133], v[164:165], s[16:17], -v[130:131]
	v_add_f64 v[192:193], v[192:193], v[196:197]
	v_fma_f64 v[108:109], s[10:11], v[140:141], v[112:113]
	v_add_f64 v[110:111], v[110:111], v[118:119]
	v_add_f64 v[158:159], v[92:93], v[96:97]
	v_mul_f64 v[118:119], v[176:177], s[34:35]
	v_fma_f64 v[126:127], v[160:161], s[14:15], -v[122:123]
	v_add_f64 v[132:133], v[132:133], v[192:193]
	v_add_f64 v[110:111], v[108:109], v[110:111]
	v_fma_f64 v[108:109], v[158:159], s[10:11], -v[118:119]
	v_add_f64 v[126:127], v[126:127], v[132:133]
	v_add_f64 v[108:109], v[108:109], v[126:127]
	v_fma_f64 v[126:127], v[156:157], s[26:27], -v[128:129]
	v_fma_f64 v[124:125], v[152:153], s[22:23], -v[124:125]
	v_add_f64 v[126:127], v[70:71], v[126:127]
	v_fma_f64 v[120:121], v[148:149], s[20:21], -v[120:121]
	v_add_f64 v[124:125], v[124:125], v[126:127]
	;; [unrolled: 2-line block ×5, first 2 shown]
	v_fmac_f64_e32 v[198:199], s[26:27], v[170:171]
	v_add_f64 v[114:115], v[112:113], v[114:115]
	v_fmac_f64_e32 v[194:195], s[22:23], v[168:169]
	v_add_f64 v[112:113], v[68:69], v[198:199]
	v_mul_f64 v[192:193], v[174:175], s[24:25]
	v_fmac_f64_e32 v[134:135], s[20:21], v[166:167]
	v_add_f64 v[112:113], v[194:195], v[112:113]
	s_mov_b32 s37, 0xbfea55e2
	s_mov_b32 s36, s40
	v_mul_f64 v[132:133], v[172:173], s[34:35]
	v_fma_f64 v[194:195], s[20:21], v[156:157], v[192:193]
	v_mul_f64 v[206:207], v[186:187], s[24:25]
	v_fmac_f64_e32 v[130:131], s[16:17], v[164:165]
	v_add_f64 v[112:113], v[134:135], v[112:113]
	s_mov_b32 s45, 0x3fcea1e5
	s_mov_b32 s44, s30
	v_mul_f64 v[128:129], v[162:163], s[36:37]
	v_fma_f64 v[134:135], s[10:11], v[152:153], v[132:133]
	v_add_f64 v[194:195], v[70:71], v[194:195]
	v_mul_f64 v[202:203], v[184:185], s[34:35]
	v_fma_f64 v[208:209], v[170:171], s[20:21], -v[206:207]
	v_fmac_f64_e32 v[122:123], s[14:15], v[160:161]
	v_add_f64 v[112:113], v[130:131], v[112:113]
	v_mul_f64 v[124:125], v[154:155], s[44:45]
	v_fma_f64 v[130:131], s[16:17], v[148:149], v[128:129]
	v_add_f64 v[134:135], v[134:135], v[194:195]
	v_mul_f64 v[198:199], v[182:183], s[36:37]
	v_fma_f64 v[204:205], v[168:169], s[10:11], -v[202:203]
	v_add_f64 v[208:209], v[68:69], v[208:209]
	v_fmac_f64_e32 v[118:119], s[10:11], v[158:159]
	v_add_f64 v[112:113], v[122:123], v[112:113]
	v_mul_f64 v[122:123], v[150:151], s[28:29]
	v_fma_f64 v[126:127], s[26:27], v[144:145], v[124:125]
	v_add_f64 v[130:131], v[130:131], v[134:135]
	v_mul_f64 v[194:195], v[180:181], s[44:45]
	v_fma_f64 v[200:201], v[166:167], s[16:17], -v[198:199]
	v_add_f64 v[204:205], v[204:205], v[208:209]
	v_add_f64 v[112:113], v[118:119], v[112:113]
	v_mul_f64 v[120:121], v[146:147], s[18:19]
	v_fma_f64 v[118:119], s[22:23], v[142:143], v[122:123]
	v_add_f64 v[126:127], v[126:127], v[130:131]
	v_mul_f64 v[130:131], v[178:179], s[28:29]
	v_fma_f64 v[196:197], v[164:165], s[26:27], -v[194:195]
	v_add_f64 v[200:201], v[200:201], v[204:205]
	v_fma_f64 v[116:117], s[14:15], v[140:141], v[120:121]
	v_add_f64 v[118:119], v[118:119], v[126:127]
	v_mul_f64 v[126:127], v[176:177], s[18:19]
	v_fma_f64 v[134:135], v[160:161], s[22:23], -v[130:131]
	v_add_f64 v[196:197], v[196:197], v[200:201]
	v_add_f64 v[118:119], v[116:117], v[118:119]
	v_fma_f64 v[116:117], v[158:159], s[14:15], -v[126:127]
	v_add_f64 v[134:135], v[134:135], v[196:197]
	v_add_f64 v[116:117], v[116:117], v[134:135]
	v_fma_f64 v[134:135], v[156:157], s[20:21], -v[192:193]
	v_fma_f64 v[132:133], v[152:153], s[10:11], -v[132:133]
	v_add_f64 v[134:135], v[70:71], v[134:135]
	v_fma_f64 v[128:129], v[148:149], s[16:17], -v[128:129]
	v_add_f64 v[132:133], v[132:133], v[134:135]
	;; [unrolled: 2-line block ×5, first 2 shown]
	v_fmac_f64_e32 v[206:207], s[20:21], v[170:171]
	v_add_f64 v[122:123], v[120:121], v[122:123]
	v_fmac_f64_e32 v[202:203], s[10:11], v[168:169]
	v_add_f64 v[120:121], v[68:69], v[206:207]
	s_mov_b32 s43, 0x3fe5384d
	s_mov_b32 s42, s24
	v_mul_f64 v[200:201], v[174:175], s[18:19]
	v_fmac_f64_e32 v[198:199], s[16:17], v[166:167]
	v_add_f64 v[120:121], v[202:203], v[120:121]
	v_mul_f64 v[196:197], v[172:173], s[42:43]
	v_fma_f64 v[202:203], s[14:15], v[156:157], v[200:201]
	v_mul_f64 v[214:215], v[186:187], s[18:19]
	v_fmac_f64_e32 v[194:195], s[26:27], v[164:165]
	v_add_f64 v[120:121], v[198:199], v[120:121]
	s_mov_b32 s39, 0xbfefc445
	s_mov_b32 s38, s34
	v_mul_f64 v[192:193], v[162:163], s[28:29]
	v_fma_f64 v[198:199], s[20:21], v[152:153], v[196:197]
	v_add_f64 v[202:203], v[70:71], v[202:203]
	v_mul_f64 v[210:211], v[184:185], s[42:43]
	v_fma_f64 v[216:217], v[170:171], s[14:15], -v[214:215]
	v_fmac_f64_e32 v[130:131], s[22:23], v[160:161]
	v_add_f64 v[120:121], v[194:195], v[120:121]
	v_mul_f64 v[132:133], v[154:155], s[38:39]
	v_fma_f64 v[194:195], s[22:23], v[148:149], v[192:193]
	v_add_f64 v[198:199], v[198:199], v[202:203]
	v_mul_f64 v[206:207], v[182:183], s[28:29]
	v_fma_f64 v[212:213], v[168:169], s[20:21], -v[210:211]
	v_add_f64 v[216:217], v[68:69], v[216:217]
	v_fmac_f64_e32 v[126:127], s[14:15], v[158:159]
	v_add_f64 v[120:121], v[130:131], v[120:121]
	v_mul_f64 v[130:131], v[150:151], s[44:45]
	v_fma_f64 v[134:135], s[10:11], v[144:145], v[132:133]
	v_add_f64 v[194:195], v[194:195], v[198:199]
	v_mul_f64 v[202:203], v[180:181], s[38:39]
	v_fma_f64 v[208:209], v[166:167], s[22:23], -v[206:207]
	v_add_f64 v[212:213], v[212:213], v[216:217]
	v_add_f64 v[120:121], v[126:127], v[120:121]
	v_mul_f64 v[128:129], v[146:147], s[40:41]
	v_fma_f64 v[126:127], s[26:27], v[142:143], v[130:131]
	v_add_f64 v[134:135], v[134:135], v[194:195]
	v_mul_f64 v[194:195], v[178:179], s[44:45]
	v_fma_f64 v[204:205], v[164:165], s[10:11], -v[202:203]
	v_add_f64 v[208:209], v[208:209], v[212:213]
	v_fma_f64 v[124:125], s[16:17], v[140:141], v[128:129]
	v_add_f64 v[126:127], v[126:127], v[134:135]
	v_mul_f64 v[134:135], v[176:177], s[40:41]
	v_fma_f64 v[198:199], v[160:161], s[26:27], -v[194:195]
	v_add_f64 v[204:205], v[204:205], v[208:209]
	v_add_f64 v[126:127], v[124:125], v[126:127]
	v_fma_f64 v[124:125], v[158:159], s[16:17], -v[134:135]
	v_add_f64 v[198:199], v[198:199], v[204:205]
	v_add_f64 v[124:125], v[124:125], v[198:199]
	v_fma_f64 v[198:199], v[156:157], s[14:15], -v[200:201]
	v_fma_f64 v[196:197], v[152:153], s[20:21], -v[196:197]
	v_add_f64 v[198:199], v[70:71], v[198:199]
	v_fma_f64 v[192:193], v[148:149], s[22:23], -v[192:193]
	v_add_f64 v[196:197], v[196:197], v[198:199]
	;; [unrolled: 2-line block ×5, first 2 shown]
	v_fmac_f64_e32 v[214:215], s[14:15], v[170:171]
	v_add_f64 v[130:131], v[128:129], v[130:131]
	v_fmac_f64_e32 v[210:211], s[20:21], v[168:169]
	v_add_f64 v[128:129], v[68:69], v[214:215]
	v_mul_f64 v[208:209], v[174:175], s[38:39]
	v_fmac_f64_e32 v[206:207], s[22:23], v[166:167]
	v_add_f64 v[128:129], v[210:211], v[128:129]
	s_mov_b32 s41, 0x3fedeba7
	s_mov_b32 s40, s18
	v_mul_f64 v[204:205], v[172:173], s[30:31]
	v_fma_f64 v[210:211], s[10:11], v[156:157], v[208:209]
	v_mul_f64 v[226:227], v[186:187], s[38:39]
	v_fmac_f64_e32 v[202:203], s[10:11], v[164:165]
	v_add_f64 v[128:129], v[206:207], v[128:129]
	v_mul_f64 v[200:201], v[162:163], s[40:41]
	v_fma_f64 v[206:207], s[26:27], v[152:153], v[204:205]
	v_add_f64 v[210:211], v[70:71], v[210:211]
	v_mul_f64 v[218:219], v[184:185], s[30:31]
	v_fma_f64 v[228:229], v[170:171], s[10:11], -v[226:227]
	v_fmac_f64_e32 v[194:195], s[26:27], v[160:161]
	v_add_f64 v[128:129], v[202:203], v[128:129]
	v_mul_f64 v[196:197], v[154:155], s[28:29]
	v_fma_f64 v[202:203], s[14:15], v[148:149], v[200:201]
	v_add_f64 v[206:207], v[206:207], v[210:211]
	v_mul_f64 v[214:215], v[182:183], s[40:41]
	v_fma_f64 v[220:221], v[168:169], s[26:27], -v[218:219]
	v_add_f64 v[228:229], v[68:69], v[228:229]
	v_fmac_f64_e32 v[134:135], s[16:17], v[158:159]
	v_add_f64 v[128:129], v[194:195], v[128:129]
	v_mul_f64 v[194:195], v[150:151], s[36:37]
	v_fma_f64 v[198:199], s[22:23], v[144:145], v[196:197]
	v_add_f64 v[202:203], v[202:203], v[206:207]
	v_mul_f64 v[210:211], v[180:181], s[28:29]
	v_fma_f64 v[216:217], v[166:167], s[14:15], -v[214:215]
	v_add_f64 v[220:221], v[220:221], v[228:229]
	v_add_f64 v[128:129], v[134:135], v[128:129]
	v_mul_f64 v[192:193], v[146:147], s[24:25]
	v_fma_f64 v[134:135], s[16:17], v[142:143], v[194:195]
	v_add_f64 v[198:199], v[198:199], v[202:203]
	v_mul_f64 v[202:203], v[178:179], s[36:37]
	v_fma_f64 v[212:213], v[164:165], s[22:23], -v[210:211]
	v_add_f64 v[216:217], v[216:217], v[220:221]
	v_fma_f64 v[132:133], s[20:21], v[140:141], v[192:193]
	v_add_f64 v[134:135], v[134:135], v[198:199]
	v_mul_f64 v[198:199], v[176:177], s[24:25]
	v_fma_f64 v[206:207], v[160:161], s[16:17], -v[202:203]
	v_add_f64 v[212:213], v[212:213], v[216:217]
	v_add_f64 v[134:135], v[132:133], v[134:135]
	v_fma_f64 v[132:133], v[158:159], s[20:21], -v[198:199]
	v_add_f64 v[206:207], v[206:207], v[212:213]
	v_add_f64 v[132:133], v[132:133], v[206:207]
	v_fma_f64 v[206:207], v[156:157], s[10:11], -v[208:209]
	v_fma_f64 v[204:205], v[152:153], s[26:27], -v[204:205]
	v_add_f64 v[206:207], v[70:71], v[206:207]
	v_fma_f64 v[200:201], v[148:149], s[14:15], -v[200:201]
	v_add_f64 v[204:205], v[204:205], v[206:207]
	;; [unrolled: 2-line block ×5, first 2 shown]
	v_fmac_f64_e32 v[226:227], s[10:11], v[170:171]
	v_add_f64 v[194:195], v[192:193], v[194:195]
	v_fmac_f64_e32 v[218:219], s[26:27], v[168:169]
	v_add_f64 v[192:193], v[68:69], v[226:227]
	v_mul_f64 v[216:217], v[174:175], s[36:37]
	v_fmac_f64_e32 v[214:215], s[14:15], v[166:167]
	v_add_f64 v[192:193], v[218:219], v[192:193]
	v_mul_f64 v[212:213], v[172:173], s[18:19]
	v_fma_f64 v[218:219], s[16:17], v[156:157], v[216:217]
	v_mul_f64 v[234:235], v[186:187], s[36:37]
	v_fmac_f64_e32 v[210:211], s[22:23], v[164:165]
	v_add_f64 v[192:193], v[214:215], v[192:193]
	v_mul_f64 v[208:209], v[162:163], s[30:31]
	v_fma_f64 v[214:215], s[14:15], v[152:153], v[212:213]
	v_add_f64 v[218:219], v[70:71], v[218:219]
	v_mul_f64 v[230:231], v[184:185], s[18:19]
	v_fma_f64 v[236:237], v[170:171], s[16:17], -v[234:235]
	v_fmac_f64_e32 v[202:203], s[16:17], v[160:161]
	v_add_f64 v[192:193], v[210:211], v[192:193]
	v_mul_f64 v[204:205], v[154:155], s[42:43]
	v_fma_f64 v[210:211], s[26:27], v[148:149], v[208:209]
	v_add_f64 v[214:215], v[214:215], v[218:219]
	v_mul_f64 v[226:227], v[182:183], s[30:31]
	v_fma_f64 v[232:233], v[168:169], s[14:15], -v[230:231]
	v_add_f64 v[236:237], v[68:69], v[236:237]
	v_fmac_f64_e32 v[198:199], s[20:21], v[158:159]
	v_add_f64 v[192:193], v[202:203], v[192:193]
	v_mul_f64 v[202:203], v[150:151], s[34:35]
	v_fma_f64 v[206:207], s[20:21], v[144:145], v[204:205]
	v_add_f64 v[210:211], v[210:211], v[214:215]
	v_mul_f64 v[218:219], v[180:181], s[42:43]
	v_fma_f64 v[228:229], v[166:167], s[26:27], -v[226:227]
	v_add_f64 v[232:233], v[232:233], v[236:237]
	v_add_f64 v[192:193], v[198:199], v[192:193]
	v_mul_f64 v[200:201], v[146:147], s[28:29]
	v_fma_f64 v[198:199], s[10:11], v[142:143], v[202:203]
	v_add_f64 v[206:207], v[206:207], v[210:211]
	v_mul_f64 v[210:211], v[178:179], s[34:35]
	v_fma_f64 v[220:221], v[164:165], s[20:21], -v[218:219]
	v_add_f64 v[228:229], v[228:229], v[232:233]
	v_fma_f64 v[196:197], s[22:23], v[140:141], v[200:201]
	v_add_f64 v[198:199], v[198:199], v[206:207]
	v_mul_f64 v[206:207], v[176:177], s[28:29]
	v_fma_f64 v[214:215], v[160:161], s[10:11], -v[210:211]
	v_add_f64 v[220:221], v[220:221], v[228:229]
	v_add_f64 v[198:199], v[196:197], v[198:199]
	v_fma_f64 v[196:197], v[158:159], s[22:23], -v[206:207]
	v_add_f64 v[214:215], v[214:215], v[220:221]
	v_add_f64 v[196:197], v[196:197], v[214:215]
	v_fma_f64 v[214:215], v[156:157], s[16:17], -v[216:217]
	v_fma_f64 v[212:213], v[152:153], s[14:15], -v[212:213]
	v_add_f64 v[214:215], v[70:71], v[214:215]
	v_fma_f64 v[208:209], v[148:149], s[26:27], -v[208:209]
	v_add_f64 v[212:213], v[212:213], v[214:215]
	;; [unrolled: 2-line block ×5, first 2 shown]
	v_fmac_f64_e32 v[234:235], s[16:17], v[170:171]
	v_add_f64 v[202:203], v[200:201], v[202:203]
	v_fmac_f64_e32 v[230:231], s[14:15], v[168:169]
	v_add_f64 v[200:201], v[68:69], v[234:235]
	;; [unrolled: 2-line block ×5, first 2 shown]
	s_mov_b32 s29, 0xbfddbe06
	v_fmac_f64_e32 v[206:207], s[22:23], v[158:159]
	v_add_f64 v[200:201], v[210:211], v[200:201]
	v_mul_f64 v[150:151], v[150:151], s[24:25]
	v_mul_f64 v[214:215], v[174:175], s[28:29]
	v_add_f64 v[200:201], v[206:207], v[200:201]
	v_fma_f64 v[206:207], s[20:21], v[142:143], v[150:151]
	v_fma_f64 v[174:175], s[22:23], v[156:157], v[214:215]
	v_fma_f64 v[142:143], v[142:143], s[20:21], -v[150:151]
	v_fma_f64 v[150:151], v[156:157], s[22:23], -v[214:215]
	v_add_f64 v[174:175], v[70:71], v[174:175]
	v_add_f64 v[150:151], v[70:71], v[150:151]
	v_add_f64 v[70:71], v[70:71], v[74:75]
	v_add_f64 v[70:71], v[70:71], v[78:79]
	v_add_f64 v[70:71], v[70:71], v[82:83]
	v_add_f64 v[70:71], v[70:71], v[86:87]
	v_add_f64 v[70:71], v[70:71], v[90:91]
	v_add_f64 v[70:71], v[70:71], v[94:95]
	v_add_f64 v[70:71], v[70:71], v[98:99]
	v_add_f64 v[70:71], v[70:71], v[102:103]
	v_add_f64 v[70:71], v[70:71], v[106:107]
	v_add_f64 v[10:11], v[70:71], v[10:11]
	v_add_f64 v[6:7], v[10:11], v[6:7]
	v_add_f64 v[2:3], v[6:7], v[2:3]
	v_add_f64 v[6:7], v[68:69], v[72:73]
	v_mul_f64 v[146:147], v[146:147], s[30:31]
	v_mul_f64 v[162:163], v[162:163], s[38:39]
	;; [unrolled: 1-line block ×3, first 2 shown]
	v_add_f64 v[6:7], v[6:7], v[76:77]
	v_fma_f64 v[204:205], s[26:27], v[140:141], v[146:147]
	v_fma_f64 v[210:211], s[10:11], v[148:149], v[162:163]
	v_fma_f64 v[140:141], v[140:141], s[26:27], -v[146:147]
	v_fma_f64 v[146:147], v[148:149], s[10:11], -v[162:163]
	;; [unrolled: 1-line block ×3, first 2 shown]
	v_add_f64 v[6:7], v[6:7], v[80:81]
	v_mul_f64 v[154:155], v[154:155], s[18:19]
	v_add_f64 v[148:149], v[148:149], v[150:151]
	v_add_f64 v[6:7], v[6:7], v[84:85]
	v_fma_f64 v[208:209], s[14:15], v[144:145], v[154:155]
	v_fma_f64 v[144:145], v[144:145], s[14:15], -v[154:155]
	v_add_f64 v[146:147], v[146:147], v[148:149]
	v_add_f64 v[6:7], v[6:7], v[88:89]
	v_fma_f64 v[172:173], s[16:17], v[152:153], v[212:213]
	v_mul_f64 v[186:187], v[186:187], s[28:29]
	v_add_f64 v[144:145], v[144:145], v[146:147]
	v_add_f64 v[6:7], v[6:7], v[92:93]
	;; [unrolled: 1-line block ×3, first 2 shown]
	v_mul_f64 v[184:185], v[184:185], s[36:37]
	v_fma_f64 v[216:217], v[170:171], s[22:23], -v[186:187]
	v_add_f64 v[142:143], v[142:143], v[144:145]
	v_fmac_f64_e32 v[186:187], s[22:23], v[170:171]
	v_add_f64 v[6:7], v[6:7], v[96:97]
	v_add_f64 v[172:173], v[210:211], v[172:173]
	v_mul_f64 v[182:183], v[182:183], s[38:39]
	v_fma_f64 v[210:211], v[168:169], s[16:17], -v[184:185]
	v_add_f64 v[216:217], v[68:69], v[216:217]
	v_add_f64 v[142:143], v[140:141], v[142:143]
	v_fmac_f64_e32 v[184:185], s[16:17], v[168:169]
	v_add_f64 v[140:141], v[68:69], v[186:187]
	v_add_f64 v[6:7], v[6:7], v[100:101]
	v_add_f64 v[172:173], v[208:209], v[172:173]
	v_mul_f64 v[180:181], v[180:181], s[18:19]
	v_fma_f64 v[208:209], v[166:167], s[10:11], -v[182:183]
	v_add_f64 v[210:211], v[210:211], v[216:217]
	v_fmac_f64_e32 v[182:183], s[10:11], v[166:167]
	v_add_f64 v[140:141], v[184:185], v[140:141]
	v_add_f64 v[6:7], v[6:7], v[104:105]
	v_add_f64 v[172:173], v[206:207], v[172:173]
	v_mul_f64 v[178:179], v[178:179], s[24:25]
	v_fma_f64 v[206:207], v[164:165], s[14:15], -v[180:181]
	;; [unrolled: 7-line block ×3, first 2 shown]
	v_add_f64 v[206:207], v[206:207], v[208:209]
	v_fmac_f64_e32 v[178:179], s[20:21], v[160:161]
	v_add_f64 v[140:141], v[180:181], v[140:141]
	v_add_f64 v[4:5], v[6:7], v[4:5]
	v_fma_f64 v[172:173], v[158:159], s[26:27], -v[176:177]
	v_add_f64 v[204:205], v[204:205], v[206:207]
	v_fmac_f64_e32 v[176:177], s[26:27], v[158:159]
	v_add_f64 v[140:141], v[178:179], v[140:141]
	v_add_f64 v[0:1], v[4:5], v[0:1]
	v_lshl_add_u32 v4, v224, 4, v223
	v_add_f64 v[172:173], v[172:173], v[204:205]
	v_add_f64 v[140:141], v[176:177], v[140:141]
	ds_write_b128 v4, v[0:3]
	ds_write_b128 v4, v[140:143] offset:16
	ds_write_b128 v4, v[200:203] offset:32
	;; [unrolled: 1-line block ×12, first 2 shown]
.LBB0_13:
	s_or_b64 exec, exec, s[0:1]
	s_waitcnt lgkmcnt(0)
	; wave barrier
	s_waitcnt lgkmcnt(0)
	ds_read_b128 v[0:3], v188
	ds_read_b128 v[6:9], v188 offset:416
	ds_read_b128 v[68:71], v188 offset:832
	;; [unrolled: 1-line block ×9, first 2 shown]
	s_waitcnt lgkmcnt(8)
	v_mul_f64 v[4:5], v[26:27], v[8:9]
	v_fmac_f64_e32 v[4:5], v[24:25], v[6:7]
	v_mul_f64 v[6:7], v[26:27], v[6:7]
	v_fma_f64 v[6:7], v[24:25], v[8:9], -v[6:7]
	s_waitcnt lgkmcnt(7)
	v_mul_f64 v[8:9], v[22:23], v[70:71]
	v_mul_f64 v[10:11], v[22:23], v[68:69]
	v_fmac_f64_e32 v[8:9], v[20:21], v[68:69]
	v_fma_f64 v[10:11], v[20:21], v[70:71], -v[10:11]
	s_waitcnt lgkmcnt(6)
	v_mul_f64 v[20:21], v[18:19], v[74:75]
	v_mul_f64 v[18:19], v[18:19], v[72:73]
	s_waitcnt lgkmcnt(3)
	v_mul_f64 v[24:25], v[38:39], v[86:87]
	v_mul_f64 v[26:27], v[38:39], v[84:85]
	v_fmac_f64_e32 v[20:21], v[16:17], v[72:73]
	v_fma_f64 v[16:17], v[16:17], v[74:75], -v[18:19]
	v_mul_f64 v[18:19], v[14:15], v[78:79]
	v_fmac_f64_e32 v[24:25], v[36:37], v[84:85]
	v_fma_f64 v[26:27], v[36:37], v[86:87], -v[26:27]
	s_waitcnt lgkmcnt(2)
	v_mul_f64 v[36:37], v[34:35], v[90:91]
	v_mul_f64 v[34:35], v[34:35], v[88:89]
	v_fmac_f64_e32 v[18:19], v[12:13], v[76:77]
	v_mul_f64 v[14:15], v[14:15], v[76:77]
	v_fmac_f64_e32 v[36:37], v[32:33], v[88:89]
	v_fma_f64 v[32:33], v[32:33], v[90:91], -v[34:35]
	s_waitcnt lgkmcnt(1)
	v_mul_f64 v[34:35], v[30:31], v[94:95]
	v_mul_f64 v[30:31], v[30:31], v[92:93]
	v_fma_f64 v[12:13], v[12:13], v[78:79], -v[14:15]
	v_mul_f64 v[14:15], v[42:43], v[82:83]
	v_mul_f64 v[22:23], v[42:43], v[80:81]
	v_fmac_f64_e32 v[34:35], v[28:29], v[92:93]
	v_fma_f64 v[28:29], v[28:29], v[94:95], -v[30:31]
	s_waitcnt lgkmcnt(0)
	v_mul_f64 v[30:31], v[46:47], v[98:99]
	v_mul_f64 v[38:39], v[46:47], v[96:97]
	v_add_f64 v[42:43], v[18:19], v[24:25]
	s_mov_b32 s18, 0x134454ff
	v_fmac_f64_e32 v[30:31], v[44:45], v[96:97]
	v_fma_f64 v[38:39], v[44:45], v[98:99], -v[38:39]
	v_fma_f64 v[42:43], -0.5, v[42:43], v[0:1]
	v_add_f64 v[44:45], v[10:11], -v[28:29]
	s_mov_b32 s19, 0xbfee6f0e
	s_mov_b32 s16, 0x4755a5e
	;; [unrolled: 1-line block ×4, first 2 shown]
	v_fma_f64 v[46:47], s[18:19], v[44:45], v[42:43]
	v_add_f64 v[68:69], v[12:13], -v[26:27]
	s_mov_b32 s17, 0xbfe2cf23
	v_add_f64 v[70:71], v[8:9], -v[18:19]
	v_add_f64 v[72:73], v[34:35], -v[24:25]
	s_mov_b32 s14, 0x372fe950
	v_fmac_f64_e32 v[42:43], s[10:11], v[44:45]
	s_mov_b32 s1, 0x3fe2cf23
	s_mov_b32 s0, s16
	v_fmac_f64_e32 v[46:47], s[16:17], v[68:69]
	v_add_f64 v[70:71], v[70:71], v[72:73]
	s_mov_b32 s15, 0x3fd3c6ef
	v_fmac_f64_e32 v[42:43], s[0:1], v[68:69]
	v_fmac_f64_e32 v[46:47], s[14:15], v[70:71]
	;; [unrolled: 1-line block ×3, first 2 shown]
	v_add_f64 v[70:71], v[8:9], v[34:35]
	v_fmac_f64_e32 v[14:15], v[40:41], v[80:81]
	v_fma_f64 v[22:23], v[40:41], v[82:83], -v[22:23]
	v_add_f64 v[40:41], v[0:1], v[8:9]
	v_fmac_f64_e32 v[0:1], -0.5, v[70:71]
	v_add_f64 v[40:41], v[40:41], v[18:19]
	v_fma_f64 v[70:71], s[10:11], v[68:69], v[0:1]
	v_add_f64 v[72:73], v[18:19], -v[8:9]
	v_add_f64 v[74:75], v[24:25], -v[34:35]
	v_fmac_f64_e32 v[0:1], s[18:19], v[68:69]
	v_add_f64 v[68:69], v[12:13], v[26:27]
	v_add_f64 v[40:41], v[40:41], v[24:25]
	v_fmac_f64_e32 v[70:71], s[16:17], v[44:45]
	v_add_f64 v[72:73], v[72:73], v[74:75]
	v_fmac_f64_e32 v[0:1], s[0:1], v[44:45]
	v_fma_f64 v[68:69], -0.5, v[68:69], v[2:3]
	v_add_f64 v[8:9], v[8:9], -v[34:35]
	v_add_f64 v[40:41], v[40:41], v[34:35]
	v_fmac_f64_e32 v[70:71], s[14:15], v[72:73]
	v_fmac_f64_e32 v[0:1], s[14:15], v[72:73]
	v_fma_f64 v[34:35], s[10:11], v[8:9], v[68:69]
	v_add_f64 v[18:19], v[18:19], -v[24:25]
	v_add_f64 v[24:25], v[10:11], -v[12:13]
	;; [unrolled: 1-line block ×3, first 2 shown]
	v_fmac_f64_e32 v[68:69], s[18:19], v[8:9]
	v_fmac_f64_e32 v[34:35], s[0:1], v[18:19]
	v_add_f64 v[24:25], v[24:25], v[72:73]
	v_fmac_f64_e32 v[68:69], s[16:17], v[18:19]
	v_fmac_f64_e32 v[34:35], s[14:15], v[24:25]
	;; [unrolled: 1-line block ×3, first 2 shown]
	v_add_f64 v[24:25], v[10:11], v[28:29]
	v_add_f64 v[44:45], v[2:3], v[10:11]
	v_fmac_f64_e32 v[2:3], -0.5, v[24:25]
	v_fma_f64 v[72:73], s[18:19], v[18:19], v[2:3]
	v_fmac_f64_e32 v[2:3], s[10:11], v[18:19]
	v_fmac_f64_e32 v[72:73], s[0:1], v[8:9]
	;; [unrolled: 1-line block ×3, first 2 shown]
	v_add_f64 v[8:9], v[4:5], v[20:21]
	v_add_f64 v[44:45], v[44:45], v[12:13]
	;; [unrolled: 1-line block ×6, first 2 shown]
	v_add_f64 v[10:11], v[12:13], -v[10:11]
	v_add_f64 v[12:13], v[26:27], -v[28:29]
	v_add_f64 v[28:29], v[8:9], v[30:31]
	v_add_f64 v[8:9], v[14:15], v[36:37]
	;; [unrolled: 1-line block ×3, first 2 shown]
	v_fma_f64 v[26:27], -0.5, v[8:9], v[4:5]
	v_add_f64 v[8:9], v[16:17], -v[38:39]
	v_fmac_f64_e32 v[72:73], s[14:15], v[10:11]
	v_fmac_f64_e32 v[2:3], s[14:15], v[10:11]
	v_fma_f64 v[18:19], s[18:19], v[8:9], v[26:27]
	v_add_f64 v[10:11], v[22:23], -v[32:33]
	v_add_f64 v[12:13], v[20:21], -v[14:15]
	;; [unrolled: 1-line block ×3, first 2 shown]
	v_fmac_f64_e32 v[26:27], s[10:11], v[8:9]
	v_fmac_f64_e32 v[18:19], s[16:17], v[10:11]
	v_add_f64 v[12:13], v[12:13], v[24:25]
	v_fmac_f64_e32 v[26:27], s[0:1], v[10:11]
	v_fmac_f64_e32 v[18:19], s[14:15], v[12:13]
	;; [unrolled: 1-line block ×3, first 2 shown]
	v_add_f64 v[12:13], v[20:21], v[30:31]
	v_fmac_f64_e32 v[4:5], -0.5, v[12:13]
	v_fma_f64 v[74:75], s[10:11], v[10:11], v[4:5]
	v_fmac_f64_e32 v[4:5], s[18:19], v[10:11]
	v_fmac_f64_e32 v[74:75], s[16:17], v[8:9]
	;; [unrolled: 1-line block ×3, first 2 shown]
	v_add_f64 v[8:9], v[6:7], v[16:17]
	v_add_f64 v[8:9], v[8:9], v[22:23]
	;; [unrolled: 1-line block ×3, first 2 shown]
	v_add_f64 v[12:13], v[14:15], -v[20:21]
	v_add_f64 v[24:25], v[36:37], -v[30:31]
	v_add_f64 v[76:77], v[8:9], v[38:39]
	v_add_f64 v[8:9], v[22:23], v[32:33]
	;; [unrolled: 1-line block ×3, first 2 shown]
	v_fma_f64 v[78:79], -0.5, v[8:9], v[6:7]
	v_add_f64 v[8:9], v[20:21], -v[30:31]
	v_fmac_f64_e32 v[74:75], s[14:15], v[12:13]
	v_fmac_f64_e32 v[4:5], s[14:15], v[12:13]
	v_fma_f64 v[30:31], s[10:11], v[8:9], v[78:79]
	v_add_f64 v[10:11], v[14:15], -v[36:37]
	v_add_f64 v[12:13], v[16:17], -v[22:23]
	;; [unrolled: 1-line block ×3, first 2 shown]
	v_fmac_f64_e32 v[78:79], s[18:19], v[8:9]
	v_fmac_f64_e32 v[30:31], s[0:1], v[10:11]
	v_add_f64 v[12:13], v[12:13], v[14:15]
	v_fmac_f64_e32 v[78:79], s[16:17], v[10:11]
	v_fmac_f64_e32 v[30:31], s[14:15], v[12:13]
	;; [unrolled: 1-line block ×3, first 2 shown]
	v_add_f64 v[12:13], v[16:17], v[38:39]
	v_fmac_f64_e32 v[6:7], -0.5, v[12:13]
	v_fma_f64 v[36:37], s[18:19], v[10:11], v[6:7]
	v_add_f64 v[12:13], v[22:23], -v[16:17]
	v_add_f64 v[14:15], v[32:33], -v[38:39]
	v_fmac_f64_e32 v[6:7], s[10:11], v[10:11]
	v_fmac_f64_e32 v[36:37], s[0:1], v[8:9]
	v_add_f64 v[12:13], v[12:13], v[14:15]
	v_fmac_f64_e32 v[6:7], s[16:17], v[8:9]
	v_fmac_f64_e32 v[36:37], s[14:15], v[12:13]
	v_fmac_f64_e32 v[6:7], s[14:15], v[12:13]
	s_mov_b32 s20, 0x9b97f4a8
	v_mul_f64 v[32:33], v[30:31], s[16:17]
	s_mov_b32 s21, 0x3fe9e377
	v_mul_f64 v[38:39], v[36:37], s[18:19]
	v_mul_f64 v[80:81], v[6:7], s[18:19]
	s_mov_b32 s19, 0xbfd3c6ef
	s_mov_b32 s18, s14
	v_mul_f64 v[82:83], v[78:79], s[16:17]
	s_mov_b32 s17, 0xbfe9e377
	s_mov_b32 s16, s20
	v_mul_f64 v[84:85], v[36:37], s[14:15]
	v_fmac_f64_e32 v[38:39], s[14:15], v[74:75]
	v_mul_f64 v[30:31], v[30:31], s[20:21]
	v_fmac_f64_e32 v[84:85], s[10:11], v[74:75]
	v_mul_f64 v[74:75], v[6:7], s[18:19]
	v_mul_f64 v[78:79], v[78:79], s[16:17]
	v_fmac_f64_e32 v[32:33], s[20:21], v[18:19]
	v_fmac_f64_e32 v[80:81], s[18:19], v[4:5]
	;; [unrolled: 1-line block ×6, first 2 shown]
	v_add_f64 v[8:9], v[40:41], v[28:29]
	v_add_f64 v[12:13], v[46:47], v[32:33]
	;; [unrolled: 1-line block ×10, first 2 shown]
	v_add_f64 v[4:5], v[40:41], -v[28:29]
	v_add_f64 v[28:29], v[46:47], -v[32:33]
	;; [unrolled: 1-line block ×10, first 2 shown]
	s_waitcnt lgkmcnt(0)
	; wave barrier
	ds_write_b128 v190, v[8:11]
	ds_write_b128 v190, v[12:15] offset:208
	ds_write_b128 v190, v[16:19] offset:416
	;; [unrolled: 1-line block ×9, first 2 shown]
	s_waitcnt lgkmcnt(0)
	; wave barrier
	s_waitcnt lgkmcnt(0)
	ds_read_b128 v[0:3], v188 offset:2080
	ds_read_b128 v[4:7], v188
	ds_read_b128 v[8:11], v188 offset:416
	ds_read_b128 v[12:15], v188 offset:2496
	;; [unrolled: 1-line block ×8, first 2 shown]
	s_waitcnt lgkmcnt(9)
	v_mul_f64 v[40:41], v[50:51], v[2:3]
	v_fmac_f64_e32 v[40:41], v[48:49], v[0:1]
	v_mul_f64 v[0:1], v[50:51], v[0:1]
	v_fma_f64 v[2:3], v[48:49], v[2:3], -v[0:1]
	s_waitcnt lgkmcnt(6)
	v_mul_f64 v[0:1], v[54:55], v[12:13]
	v_mul_f64 v[42:43], v[54:55], v[14:15]
	v_fma_f64 v[14:15], v[52:53], v[14:15], -v[0:1]
	s_waitcnt lgkmcnt(5)
	v_mul_f64 v[0:1], v[58:59], v[16:17]
	;; [unrolled: 4-line block ×4, first 2 shown]
	v_mul_f64 v[0:1], v[66:67], v[36:37]
	v_fmac_f64_e32 v[42:43], v[52:53], v[12:13]
	v_fmac_f64_e32 v[44:45], v[56:57], v[16:17]
	;; [unrolled: 1-line block ×4, first 2 shown]
	v_fma_f64 v[38:39], v[64:65], v[38:39], -v[0:1]
	v_add_f64 v[0:1], v[4:5], -v[40:41]
	v_add_f64 v[2:3], v[6:7], -v[2:3]
	v_fma_f64 v[4:5], v[4:5], 2.0, -v[0:1]
	v_fma_f64 v[6:7], v[6:7], 2.0, -v[2:3]
	v_add_f64 v[12:13], v[8:9], -v[42:43]
	v_add_f64 v[14:15], v[10:11], -v[14:15]
	v_add_f64 v[16:17], v[20:21], -v[44:45]
	v_add_f64 v[18:19], v[22:23], -v[18:19]
	v_add_f64 v[32:33], v[24:25], -v[46:47]
	v_add_f64 v[34:35], v[26:27], -v[34:35]
	v_add_f64 v[36:37], v[28:29], -v[48:49]
	v_add_f64 v[38:39], v[30:31], -v[38:39]
	v_fma_f64 v[8:9], v[8:9], 2.0, -v[12:13]
	v_fma_f64 v[10:11], v[10:11], 2.0, -v[14:15]
	;; [unrolled: 1-line block ×8, first 2 shown]
	ds_write_b128 v189, v[4:7]
	ds_write_b128 v189, v[0:3] offset:2080
	ds_write_b128 v189, v[8:11] offset:416
	;; [unrolled: 1-line block ×9, first 2 shown]
	s_waitcnt lgkmcnt(0)
	; wave barrier
	s_waitcnt lgkmcnt(0)
	s_and_b64 exec, exec, s[2:3]
	s_cbranch_execz .LBB0_15
; %bb.14:
	global_load_dwordx4 v[0:3], v136, s[8:9]
	global_load_dwordx4 v[4:7], v136, s[8:9] offset:320
	global_load_dwordx4 v[8:11], v136, s[8:9] offset:640
	;; [unrolled: 1-line block ×11, first 2 shown]
	v_mad_u64_u32 v[74:75], s[0:1], s6, v138, 0
	v_mad_u64_u32 v[76:77], s[2:3], s4, v139, 0
	v_mov_b32_e32 v78, v75
	v_mov_b32_e32 v80, v77
	v_mad_u64_u32 v[78:79], s[6:7], s7, v138, v[78:79]
	v_mov_b32_e32 v72, s12
	v_mov_b32_e32 v73, s13
	;; [unrolled: 3-line block ×3, first 2 shown]
	v_lshl_add_u64 v[72:73], v[74:75], 4, v[72:73]
	v_mov_b32_e32 v95, 0x140
	v_lshl_add_u64 v[74:75], v[76:77], 4, v[72:73]
	v_lshl_add_u32 v94, v222, 4, v136
	s_mul_i32 s2, s5, 0x140
	ds_read_b128 v[48:51], v189
	ds_read_b128 v[52:55], v94 offset:320
	ds_read_b128 v[56:59], v94 offset:640
	;; [unrolled: 1-line block ×5, first 2 shown]
	v_mad_u64_u32 v[76:77], s[6:7], s4, v95, v[74:75]
	v_add_u32_e32 v77, s2, v77
	s_mov_b32 s0, 0x1f81f820
	v_mad_u64_u32 v[78:79], s[6:7], s4, v95, v[76:77]
	s_mov_b32 s1, 0x3f6f81f8
	v_add_u32_e32 v79, s2, v79
	v_mad_u64_u32 v[80:81], s[6:7], s4, v95, v[78:79]
	v_add_u32_e32 v81, s2, v81
	v_mad_u64_u32 v[82:83], s[6:7], s4, v95, v[80:81]
	v_add_u32_e32 v83, s2, v83
	s_mul_i32 s3, s5, 0x280
	s_waitcnt vmcnt(11) lgkmcnt(5)
	v_mul_f64 v[84:85], v[50:51], v[2:3]
	v_mul_f64 v[2:3], v[48:49], v[2:3]
	s_waitcnt vmcnt(10) lgkmcnt(4)
	v_mul_f64 v[86:87], v[54:55], v[6:7]
	v_mul_f64 v[6:7], v[52:53], v[6:7]
	;; [unrolled: 3-line block ×4, first 2 shown]
	v_fmac_f64_e32 v[84:85], v[48:49], v[0:1]
	v_fma_f64 v[2:3], v[0:1], v[50:51], -v[2:3]
	v_fmac_f64_e32 v[86:87], v[52:53], v[4:5]
	v_fma_f64 v[6:7], v[4:5], v[54:55], -v[6:7]
	;; [unrolled: 2-line block ×4, first 2 shown]
	v_mul_f64 v[0:1], v[84:85], s[0:1]
	v_mul_f64 v[2:3], v[2:3], s[0:1]
	;; [unrolled: 1-line block ×8, first 2 shown]
	global_store_dwordx4 v[74:75], v[0:3], off
	global_store_dwordx4 v[76:77], v[4:7], off
	;; [unrolled: 1-line block ×4, first 2 shown]
	global_load_dwordx4 v[4:7], v136, s[8:9] offset:3840
	s_waitcnt vmcnt(12) lgkmcnt(1)
	v_mul_f64 v[92:93], v[66:67], v[18:19]
	v_mul_f64 v[18:19], v[64:65], v[18:19]
	v_fmac_f64_e32 v[92:93], v[64:65], v[16:17]
	v_fma_f64 v[18:19], v[16:17], v[66:67], -v[18:19]
	v_mul_f64 v[16:17], v[92:93], s[0:1]
	v_mul_f64 v[18:19], v[18:19], s[0:1]
	s_waitcnt vmcnt(11) lgkmcnt(0)
	v_mul_f64 v[0:1], v[70:71], v[26:27]
	v_mul_f64 v[2:3], v[68:69], v[26:27]
	ds_read_b128 v[8:11], v94 offset:1920
	global_store_dwordx4 v[82:83], v[16:19], off
	v_fmac_f64_e32 v[0:1], v[68:69], v[24:25]
	v_fma_f64 v[2:3], v[24:25], v[70:71], -v[2:3]
	v_mad_u64_u32 v[16:17], s[6:7], s4, v95, v[82:83]
	v_mul_f64 v[0:1], v[0:1], s[0:1]
	v_mul_f64 v[2:3], v[2:3], s[0:1]
	v_add_u32_e32 v17, s2, v17
	global_store_dwordx4 v[16:17], v[0:3], off
	ds_read_b128 v[0:3], v94 offset:2240
	s_waitcnt vmcnt(12) lgkmcnt(1)
	v_mul_f64 v[12:13], v[10:11], v[22:23]
	v_fmac_f64_e32 v[12:13], v[8:9], v[20:21]
	v_mul_f64 v[8:9], v[8:9], v[22:23]
	v_fma_f64 v[8:9], v[20:21], v[10:11], -v[8:9]
	v_mul_f64 v[14:15], v[8:9], s[0:1]
	s_waitcnt vmcnt(11) lgkmcnt(0)
	v_mul_f64 v[8:9], v[2:3], v[30:31]
	v_fmac_f64_e32 v[8:9], v[0:1], v[28:29]
	v_mul_f64 v[0:1], v[0:1], v[30:31]
	v_fma_f64 v[0:1], v[28:29], v[2:3], -v[0:1]
	v_mul_f64 v[10:11], v[0:1], s[0:1]
	ds_read_b128 v[0:3], v94 offset:2560
	v_mad_u64_u32 v[16:17], s[6:7], s4, v95, v[16:17]
	v_mul_f64 v[12:13], v[12:13], s[0:1]
	v_add_u32_e32 v17, s2, v17
	global_store_dwordx4 v[16:17], v[12:15], off
	v_mad_u64_u32 v[16:17], s[6:7], s4, v95, v[16:17]
	v_mul_f64 v[8:9], v[8:9], s[0:1]
	v_add_u32_e32 v17, s2, v17
	global_store_dwordx4 v[16:17], v[8:11], off
	ds_read_b128 v[8:11], v94 offset:2880
	s_waitcnt vmcnt(12) lgkmcnt(1)
	v_mul_f64 v[12:13], v[2:3], v[34:35]
	v_fmac_f64_e32 v[12:13], v[0:1], v[32:33]
	v_mul_f64 v[0:1], v[0:1], v[34:35]
	v_or_b32_e32 v18, 0xa0, v139
	v_fma_f64 v[0:1], v[32:33], v[2:3], -v[0:1]
	v_mul_f64 v[14:15], v[0:1], s[0:1]
	v_mad_u64_u32 v[0:1], s[6:7], s4, v18, 0
	v_mov_b32_e32 v2, v1
	v_mad_u64_u32 v[2:3], s[6:7], s5, v18, v[2:3]
	v_mov_b32_e32 v1, v2
	v_mul_f64 v[12:13], v[12:13], s[0:1]
	v_lshl_add_u64 v[0:1], v[0:1], 4, v[72:73]
	global_store_dwordx4 v[0:1], v[12:15], off
	s_waitcnt vmcnt(12) lgkmcnt(0)
	v_mul_f64 v[0:1], v[10:11], v[38:39]
	v_fmac_f64_e32 v[0:1], v[8:9], v[36:37]
	v_mul_f64 v[2:3], v[8:9], v[38:39]
	v_mov_b32_e32 v8, 0x280
	v_fma_f64 v[2:3], v[36:37], v[10:11], -v[2:3]
	v_mad_u64_u32 v[16:17], s[6:7], s4, v8, v[16:17]
	ds_read_b128 v[8:11], v94 offset:3200
	v_mul_f64 v[0:1], v[0:1], s[0:1]
	v_mul_f64 v[2:3], v[2:3], s[0:1]
	v_add_u32_e32 v17, s3, v17
	global_store_dwordx4 v[16:17], v[0:3], off
	ds_read_b128 v[0:3], v94 offset:3520
	s_waitcnt vmcnt(12) lgkmcnt(1)
	v_mul_f64 v[12:13], v[10:11], v[42:43]
	v_fmac_f64_e32 v[12:13], v[8:9], v[40:41]
	v_mul_f64 v[8:9], v[8:9], v[42:43]
	v_fma_f64 v[8:9], v[40:41], v[10:11], -v[8:9]
	v_mul_f64 v[14:15], v[8:9], s[0:1]
	s_waitcnt vmcnt(11) lgkmcnt(0)
	v_mul_f64 v[8:9], v[2:3], v[46:47]
	v_fmac_f64_e32 v[8:9], v[0:1], v[44:45]
	v_mul_f64 v[0:1], v[0:1], v[46:47]
	v_fma_f64 v[0:1], v[44:45], v[2:3], -v[0:1]
	v_mul_f64 v[10:11], v[0:1], s[0:1]
	ds_read_b128 v[0:3], v94 offset:3840
	v_mad_u64_u32 v[16:17], s[6:7], s4, v95, v[16:17]
	v_mul_f64 v[12:13], v[12:13], s[0:1]
	v_add_u32_e32 v17, s2, v17
	global_store_dwordx4 v[16:17], v[12:15], off
	v_mul_f64 v[8:9], v[8:9], s[0:1]
	s_nop 0
	v_mad_u64_u32 v[12:13], s[6:7], s4, v95, v[16:17]
	v_add_u32_e32 v13, s2, v13
	global_store_dwordx4 v[12:13], v[8:11], off
	s_waitcnt vmcnt(8) lgkmcnt(0)
	s_nop 0
	v_mul_f64 v[8:9], v[2:3], v[6:7]
	v_fmac_f64_e32 v[8:9], v[0:1], v[4:5]
	v_mul_f64 v[0:1], v[0:1], v[6:7]
	v_fma_f64 v[0:1], v[4:5], v[2:3], -v[0:1]
	v_mul_f64 v[8:9], v[8:9], s[0:1]
	v_mul_f64 v[10:11], v[0:1], s[0:1]
	v_mad_u64_u32 v[0:1], s[0:1], s4, v95, v[12:13]
	v_add_u32_e32 v1, s2, v1
	global_store_dwordx4 v[0:1], v[8:11], off
.LBB0_15:
	s_endpgm
	.section	.rodata,"a",@progbits
	.p2align	6, 0x0
	.amdhsa_kernel bluestein_single_fwd_len260_dim1_dp_op_CI_CI
		.amdhsa_group_segment_fixed_size 8320
		.amdhsa_private_segment_fixed_size 0
		.amdhsa_kernarg_size 104
		.amdhsa_user_sgpr_count 2
		.amdhsa_user_sgpr_dispatch_ptr 0
		.amdhsa_user_sgpr_queue_ptr 0
		.amdhsa_user_sgpr_kernarg_segment_ptr 1
		.amdhsa_user_sgpr_dispatch_id 0
		.amdhsa_user_sgpr_kernarg_preload_length 0
		.amdhsa_user_sgpr_kernarg_preload_offset 0
		.amdhsa_user_sgpr_private_segment_size 0
		.amdhsa_uses_dynamic_stack 0
		.amdhsa_enable_private_segment 0
		.amdhsa_system_sgpr_workgroup_id_x 1
		.amdhsa_system_sgpr_workgroup_id_y 0
		.amdhsa_system_sgpr_workgroup_id_z 0
		.amdhsa_system_sgpr_workgroup_info 0
		.amdhsa_system_vgpr_workitem_id 0
		.amdhsa_next_free_vgpr 254
		.amdhsa_next_free_sgpr 50
		.amdhsa_accum_offset 256
		.amdhsa_reserve_vcc 1
		.amdhsa_float_round_mode_32 0
		.amdhsa_float_round_mode_16_64 0
		.amdhsa_float_denorm_mode_32 3
		.amdhsa_float_denorm_mode_16_64 3
		.amdhsa_dx10_clamp 1
		.amdhsa_ieee_mode 1
		.amdhsa_fp16_overflow 0
		.amdhsa_tg_split 0
		.amdhsa_exception_fp_ieee_invalid_op 0
		.amdhsa_exception_fp_denorm_src 0
		.amdhsa_exception_fp_ieee_div_zero 0
		.amdhsa_exception_fp_ieee_overflow 0
		.amdhsa_exception_fp_ieee_underflow 0
		.amdhsa_exception_fp_ieee_inexact 0
		.amdhsa_exception_int_div_zero 0
	.end_amdhsa_kernel
	.text
.Lfunc_end0:
	.size	bluestein_single_fwd_len260_dim1_dp_op_CI_CI, .Lfunc_end0-bluestein_single_fwd_len260_dim1_dp_op_CI_CI
                                        ; -- End function
	.section	.AMDGPU.csdata,"",@progbits
; Kernel info:
; codeLenInByte = 15136
; NumSgprs: 56
; NumVgprs: 254
; NumAgprs: 0
; TotalNumVgprs: 254
; ScratchSize: 0
; MemoryBound: 0
; FloatMode: 240
; IeeeMode: 1
; LDSByteSize: 8320 bytes/workgroup (compile time only)
; SGPRBlocks: 6
; VGPRBlocks: 31
; NumSGPRsForWavesPerEU: 56
; NumVGPRsForWavesPerEU: 254
; AccumOffset: 256
; Occupancy: 2
; WaveLimiterHint : 1
; COMPUTE_PGM_RSRC2:SCRATCH_EN: 0
; COMPUTE_PGM_RSRC2:USER_SGPR: 2
; COMPUTE_PGM_RSRC2:TRAP_HANDLER: 0
; COMPUTE_PGM_RSRC2:TGID_X_EN: 1
; COMPUTE_PGM_RSRC2:TGID_Y_EN: 0
; COMPUTE_PGM_RSRC2:TGID_Z_EN: 0
; COMPUTE_PGM_RSRC2:TIDIG_COMP_CNT: 0
; COMPUTE_PGM_RSRC3_GFX90A:ACCUM_OFFSET: 63
; COMPUTE_PGM_RSRC3_GFX90A:TG_SPLIT: 0
	.text
	.p2alignl 6, 3212836864
	.fill 256, 4, 3212836864
	.type	__hip_cuid_dbf97cc49712e2ab,@object ; @__hip_cuid_dbf97cc49712e2ab
	.section	.bss,"aw",@nobits
	.globl	__hip_cuid_dbf97cc49712e2ab
__hip_cuid_dbf97cc49712e2ab:
	.byte	0                               ; 0x0
	.size	__hip_cuid_dbf97cc49712e2ab, 1

	.ident	"AMD clang version 19.0.0git (https://github.com/RadeonOpenCompute/llvm-project roc-6.4.0 25133 c7fe45cf4b819c5991fe208aaa96edf142730f1d)"
	.section	".note.GNU-stack","",@progbits
	.addrsig
	.addrsig_sym __hip_cuid_dbf97cc49712e2ab
	.amdgpu_metadata
---
amdhsa.kernels:
  - .agpr_count:     0
    .args:
      - .actual_access:  read_only
        .address_space:  global
        .offset:         0
        .size:           8
        .value_kind:     global_buffer
      - .actual_access:  read_only
        .address_space:  global
        .offset:         8
        .size:           8
        .value_kind:     global_buffer
      - .actual_access:  read_only
        .address_space:  global
        .offset:         16
        .size:           8
        .value_kind:     global_buffer
      - .actual_access:  read_only
        .address_space:  global
        .offset:         24
        .size:           8
        .value_kind:     global_buffer
      - .actual_access:  read_only
        .address_space:  global
        .offset:         32
        .size:           8
        .value_kind:     global_buffer
      - .offset:         40
        .size:           8
        .value_kind:     by_value
      - .address_space:  global
        .offset:         48
        .size:           8
        .value_kind:     global_buffer
      - .address_space:  global
        .offset:         56
        .size:           8
        .value_kind:     global_buffer
      - .address_space:  global
        .offset:         64
        .size:           8
        .value_kind:     global_buffer
      - .address_space:  global
        .offset:         72
        .size:           8
        .value_kind:     global_buffer
      - .offset:         80
        .size:           4
        .value_kind:     by_value
      - .address_space:  global
        .offset:         88
        .size:           8
        .value_kind:     global_buffer
      - .address_space:  global
        .offset:         96
        .size:           8
        .value_kind:     global_buffer
    .group_segment_fixed_size: 8320
    .kernarg_segment_align: 8
    .kernarg_segment_size: 104
    .language:       OpenCL C
    .language_version:
      - 2
      - 0
    .max_flat_workgroup_size: 52
    .name:           bluestein_single_fwd_len260_dim1_dp_op_CI_CI
    .private_segment_fixed_size: 0
    .sgpr_count:     56
    .sgpr_spill_count: 0
    .symbol:         bluestein_single_fwd_len260_dim1_dp_op_CI_CI.kd
    .uniform_work_group_size: 1
    .uses_dynamic_stack: false
    .vgpr_count:     254
    .vgpr_spill_count: 0
    .wavefront_size: 64
amdhsa.target:   amdgcn-amd-amdhsa--gfx950
amdhsa.version:
  - 1
  - 2
...

	.end_amdgpu_metadata
